;; amdgpu-corpus repo=ROCm/rocFFT kind=compiled arch=gfx1030 opt=O3
	.text
	.amdgcn_target "amdgcn-amd-amdhsa--gfx1030"
	.amdhsa_code_object_version 6
	.protected	bluestein_single_back_len495_dim1_half_op_CI_CI ; -- Begin function bluestein_single_back_len495_dim1_half_op_CI_CI
	.globl	bluestein_single_back_len495_dim1_half_op_CI_CI
	.p2align	8
	.type	bluestein_single_back_len495_dim1_half_op_CI_CI,@function
bluestein_single_back_len495_dim1_half_op_CI_CI: ; @bluestein_single_back_len495_dim1_half_op_CI_CI
; %bb.0:
	s_load_dwordx4 s[0:3], s[4:5], 0x28
	v_mul_u32_u24_e32 v1, 0x4a8, v0
	v_mov_b32_e32 v17, 0
	v_lshrrev_b32_e32 v1, 16, v1
	v_add_nc_u32_e32 v16, s6, v1
	s_waitcnt lgkmcnt(0)
	v_cmp_gt_u64_e32 vcc_lo, s[0:1], v[16:17]
	s_and_saveexec_b32 s0, vcc_lo
	s_cbranch_execz .LBB0_23
; %bb.1:
	s_clause 0x1
	s_load_dwordx2 s[20:21], s[4:5], 0x0
	s_load_dwordx2 s[8:9], s[4:5], 0x38
	v_mul_lo_u16 v1, v1, 55
	v_sub_nc_u16 v0, v0, v1
	v_and_b32_e32 v29, 0xffff, v0
	v_cmp_gt_u16_e32 vcc_lo, 45, v0
	v_lshlrev_b32_e32 v28, 2, v29
	s_and_saveexec_b32 s1, vcc_lo
	s_cbranch_execz .LBB0_3
; %bb.2:
	s_load_dwordx2 s[6:7], s[4:5], 0x18
	s_waitcnt lgkmcnt(0)
	s_load_dwordx4 s[12:15], s[6:7], 0x0
	s_waitcnt lgkmcnt(0)
	v_mad_u64_u32 v[0:1], null, s14, v16, 0
	v_mad_u64_u32 v[2:3], null, s12, v29, 0
	s_mul_i32 s6, s13, 0xb4
	s_mul_hi_u32 s7, s12, 0xb4
	s_add_i32 s7, s7, s6
	v_mad_u64_u32 v[4:5], null, s15, v16, v[1:2]
	v_mad_u64_u32 v[5:6], null, s13, v29, v[3:4]
	v_mov_b32_e32 v1, v4
	v_lshlrev_b64 v[0:1], 2, v[0:1]
	v_mov_b32_e32 v3, v5
	s_clause 0x1
	global_load_dword v4, v28, s[20:21]
	global_load_dword v5, v28, s[20:21] offset:180
	v_add_co_u32 v0, s0, s2, v0
	v_lshlrev_b64 v[2:3], 2, v[2:3]
	v_add_co_ci_u32_e64 v1, s0, s3, v1, s0
	s_mul_i32 s2, s12, 0xb4
	v_add_co_u32 v0, s0, v0, v2
	v_add_co_ci_u32_e64 v1, s0, v1, v3, s0
	v_add_co_u32 v2, s0, v0, s2
	v_add_co_ci_u32_e64 v3, s0, s7, v1, s0
	s_clause 0x1
	global_load_dword v6, v[0:1], off
	global_load_dword v7, v[2:3], off
	v_add_co_u32 v0, s0, v2, s2
	v_add_co_ci_u32_e64 v1, s0, s7, v3, s0
	v_add_co_u32 v2, s0, v0, s2
	v_add_co_ci_u32_e64 v3, s0, s7, v1, s0
	global_load_dword v8, v[0:1], off
	v_add_co_u32 v0, s0, v2, s2
	v_add_co_ci_u32_e64 v1, s0, s7, v3, s0
	s_clause 0x1
	global_load_dword v9, v28, s[20:21] offset:360
	global_load_dword v10, v28, s[20:21] offset:540
	s_clause 0x1
	global_load_dword v11, v[2:3], off
	global_load_dword v12, v[0:1], off
	v_add_co_u32 v0, s0, v0, s2
	v_add_co_ci_u32_e64 v1, s0, s7, v1, s0
	s_clause 0x3
	global_load_dword v13, v28, s[20:21] offset:720
	global_load_dword v14, v28, s[20:21] offset:900
	;; [unrolled: 1-line block ×4, first 2 shown]
	v_add_co_u32 v2, s0, v0, s2
	v_add_co_ci_u32_e64 v3, s0, s7, v1, s0
	global_load_dword v18, v[0:1], off
	v_add_co_u32 v0, s0, v2, s2
	v_add_co_ci_u32_e64 v1, s0, s7, v3, s0
	global_load_dword v19, v[2:3], off
	;; [unrolled: 3-line block ×4, first 2 shown]
	v_add_co_u32 v2, s0, v0, s2
	v_add_co_ci_u32_e64 v3, s0, s7, v1, s0
	global_load_dword v22, v28, s[20:21] offset:1440
	global_load_dword v0, v[0:1], off
	global_load_dword v1, v[2:3], off
	s_clause 0x1
	global_load_dword v2, v28, s[20:21] offset:1620
	global_load_dword v3, v28, s[20:21] offset:1800
	s_waitcnt vmcnt(19)
	v_lshrrev_b32_e32 v23, 16, v6
	v_mul_f16_sdwa v24, v4, v6 dst_sel:DWORD dst_unused:UNUSED_PAD src0_sel:WORD_1 src1_sel:DWORD
	s_waitcnt vmcnt(18)
	v_lshrrev_b32_e32 v26, 16, v7
	v_mul_f16_sdwa v27, v5, v7 dst_sel:DWORD dst_unused:UNUSED_PAD src0_sel:WORD_1 src1_sel:DWORD
	v_mul_f16_sdwa v25, v4, v23 dst_sel:DWORD dst_unused:UNUSED_PAD src0_sel:WORD_1 src1_sel:DWORD
	v_fma_f16 v23, v4, v23, -v24
	v_fma_f16 v24, v5, v26, -v27
	v_fmac_f16_e32 v25, v4, v6
	v_mul_f16_sdwa v4, v5, v26 dst_sel:DWORD dst_unused:UNUSED_PAD src0_sel:WORD_1 src1_sel:DWORD
	s_waitcnt vmcnt(17)
	v_lshrrev_b32_e32 v6, 16, v8
	s_waitcnt vmcnt(16)
	v_mul_f16_sdwa v26, v9, v8 dst_sel:DWORD dst_unused:UNUSED_PAD src0_sel:WORD_1 src1_sel:DWORD
	v_fmac_f16_e32 v4, v5, v7
	v_pack_b32_f16 v23, v25, v23
	v_mul_f16_sdwa v5, v9, v6 dst_sel:DWORD dst_unused:UNUSED_PAD src0_sel:WORD_1 src1_sel:DWORD
	s_waitcnt vmcnt(14)
	v_lshrrev_b32_e32 v7, 16, v11
	v_fma_f16 v6, v9, v6, -v26
	v_pack_b32_f16 v4, v4, v24
	v_mul_f16_sdwa v25, v10, v11 dst_sel:DWORD dst_unused:UNUSED_PAD src0_sel:WORD_1 src1_sel:DWORD
	v_fmac_f16_e32 v5, v9, v8
	s_waitcnt vmcnt(13)
	v_lshrrev_b32_e32 v9, 16, v12
	v_mul_f16_sdwa v8, v10, v7 dst_sel:DWORD dst_unused:UNUSED_PAD src0_sel:WORD_1 src1_sel:DWORD
	s_waitcnt vmcnt(12)
	v_mul_f16_sdwa v24, v13, v12 dst_sel:DWORD dst_unused:UNUSED_PAD src0_sel:WORD_1 src1_sel:DWORD
	ds_write2_b32 v28, v23, v4 offset1:45
	v_pack_b32_f16 v4, v5, v6
	v_mul_f16_sdwa v5, v13, v9 dst_sel:DWORD dst_unused:UNUSED_PAD src0_sel:WORD_1 src1_sel:DWORD
	v_fma_f16 v7, v10, v7, -v25
	v_fmac_f16_e32 v8, v10, v11
	s_waitcnt vmcnt(8)
	v_lshrrev_b32_e32 v6, 16, v18
	v_fma_f16 v9, v13, v9, -v24
	v_mul_f16_sdwa v10, v14, v18 dst_sel:DWORD dst_unused:UNUSED_PAD src0_sel:WORD_1 src1_sel:DWORD
	v_fmac_f16_e32 v5, v13, v12
	s_waitcnt vmcnt(7)
	v_lshrrev_b32_e32 v11, 16, v19
	v_pack_b32_f16 v7, v8, v7
	v_mul_f16_sdwa v8, v14, v6 dst_sel:DWORD dst_unused:UNUSED_PAD src0_sel:WORD_1 src1_sel:DWORD
	v_fma_f16 v6, v14, v6, -v10
	v_mul_f16_sdwa v10, v15, v19 dst_sel:DWORD dst_unused:UNUSED_PAD src0_sel:WORD_1 src1_sel:DWORD
	v_pack_b32_f16 v5, v5, v9
	v_mul_f16_sdwa v9, v15, v11 dst_sel:DWORD dst_unused:UNUSED_PAD src0_sel:WORD_1 src1_sel:DWORD
	v_fmac_f16_e32 v8, v14, v18
	s_waitcnt vmcnt(6)
	v_lshrrev_b32_e32 v12, 16, v20
	v_mul_f16_sdwa v13, v17, v20 dst_sel:DWORD dst_unused:UNUSED_PAD src0_sel:WORD_1 src1_sel:DWORD
	v_fma_f16 v10, v15, v11, -v10
	v_fmac_f16_e32 v9, v15, v19
	v_pack_b32_f16 v6, v8, v6
	v_mul_f16_sdwa v8, v17, v12 dst_sel:DWORD dst_unused:UNUSED_PAD src0_sel:WORD_1 src1_sel:DWORD
	v_fma_f16 v11, v17, v12, -v13
	s_waitcnt vmcnt(5)
	v_lshrrev_b32_e32 v12, 16, v21
	s_waitcnt vmcnt(4)
	v_mul_f16_sdwa v13, v22, v21 dst_sel:DWORD dst_unused:UNUSED_PAD src0_sel:WORD_1 src1_sel:DWORD
	v_pack_b32_f16 v9, v9, v10
	s_waitcnt vmcnt(3)
	v_lshrrev_b32_e32 v10, 16, v0
	s_waitcnt vmcnt(2)
	v_lshrrev_b32_e32 v14, 16, v1
	v_fmac_f16_e32 v8, v17, v20
	v_mul_f16_sdwa v15, v22, v12 dst_sel:DWORD dst_unused:UNUSED_PAD src0_sel:WORD_1 src1_sel:DWORD
	v_fma_f16 v12, v22, v12, -v13
	s_waitcnt vmcnt(1)
	v_mul_f16_sdwa v13, v2, v0 dst_sel:DWORD dst_unused:UNUSED_PAD src0_sel:WORD_1 src1_sel:DWORD
	v_mul_f16_sdwa v17, v2, v10 dst_sel:DWORD dst_unused:UNUSED_PAD src0_sel:WORD_1 src1_sel:DWORD
	s_waitcnt vmcnt(0)
	v_mul_f16_sdwa v18, v3, v14 dst_sel:DWORD dst_unused:UNUSED_PAD src0_sel:WORD_1 src1_sel:DWORD
	v_mul_f16_sdwa v19, v3, v1 dst_sel:DWORD dst_unused:UNUSED_PAD src0_sel:WORD_1 src1_sel:DWORD
	v_fmac_f16_e32 v15, v22, v21
	v_fma_f16 v10, v2, v10, -v13
	v_fmac_f16_e32 v17, v2, v0
	v_fmac_f16_e32 v18, v3, v1
	v_fma_f16 v0, v3, v14, -v19
	v_pack_b32_f16 v1, v8, v11
	v_add_nc_u32_e32 v2, 0x400, v28
	v_pack_b32_f16 v3, v15, v12
	v_pack_b32_f16 v8, v17, v10
	;; [unrolled: 1-line block ×3, first 2 shown]
	ds_write2_b32 v28, v4, v7 offset0:90 offset1:135
	ds_write2_b32 v28, v5, v6 offset0:180 offset1:225
	;; [unrolled: 1-line block ×4, first 2 shown]
	ds_write_b32 v28, v0 offset:1800
.LBB0_3:
	s_or_b32 exec_lo, exec_lo, s1
	s_clause 0x1
	s_load_dwordx2 s[0:1], s[4:5], 0x20
	s_load_dwordx2 s[2:3], s[4:5], 0x8
	v_mov_b32_e32 v0, 0
	s_waitcnt lgkmcnt(0)
	s_barrier
	buffer_gl0_inv
                                        ; implicit-def: $vgpr10
                                        ; implicit-def: $vgpr3
                                        ; implicit-def: $vgpr5
                                        ; implicit-def: $vgpr7
                                        ; implicit-def: $vgpr9
	s_and_saveexec_b32 s4, vcc_lo
	s_cbranch_execz .LBB0_5
; %bb.4:
	v_add_nc_u32_e32 v2, 0x400, v28
	ds_read2_b32 v[0:1], v28 offset1:45
	ds_read2_b32 v[8:9], v28 offset0:90 offset1:135
	ds_read2_b32 v[6:7], v28 offset0:180 offset1:225
	;; [unrolled: 1-line block ×4, first 2 shown]
	ds_read_b32 v10, v28 offset:1800
.LBB0_5:
	s_or_b32 exec_lo, exec_lo, s4
	s_waitcnt lgkmcnt(0)
	v_pk_add_f16 v11, v1, v10 neg_lo:[0,1] neg_hi:[0,1]
	v_mov_b32_e32 v53, 0xb853
	v_pk_add_f16 v14, v10, v1
	v_pk_add_f16 v17, v3, v8
	v_pk_add_f16 v12, v8, v3 neg_lo:[0,1] neg_hi:[0,1]
	v_mul_f16_e32 v33, 0xbb47, v11
	v_mul_f16_sdwa v22, v11, v53 dst_sel:DWORD dst_unused:UNUSED_PAD src0_sel:WORD_1 src1_sel:DWORD
	v_lshrrev_b32_e32 v37, 16, v14
	v_pk_mul_f16 v13, 0x3abb36a6, v14
	v_mov_b32_e32 v19, 0xbb47
	v_lshrrev_b32_e32 v41, 16, v17
	v_fmamk_f16 v15, v14, 0x3abb, v22
	v_fma_f16 v18, v37, 0x36a6, -v33
	v_pk_fma_f16 v24, 0xbb47b853, v11, v13 op_sel:[0,0,1] op_sel_hi:[1,1,0] neg_lo:[0,1,0] neg_hi:[0,1,0]
	v_pk_fma_f16 v25, 0xbb47b853, v11, v13 op_sel:[0,0,1] op_sel_hi:[1,1,0]
	v_mul_f16_sdwa v26, v12, v19 dst_sel:DWORD dst_unused:UNUSED_PAD src0_sel:WORD_1 src1_sel:DWORD
	v_mul_f16_e32 v38, 0xba0c, v12
	v_pk_add_f16 v13, v9, v2 neg_lo:[0,1] neg_hi:[0,1]
	v_mov_b32_e32 v57, 0xbbeb
	v_add_f16_e32 v15, v15, v0
	v_add_f16_sdwa v18, v18, v0 dst_sel:DWORD dst_unused:UNUSED_PAD src0_sel:DWORD src1_sel:WORD_1
	v_fmamk_f16 v19, v17, 0x36a6, v26
	v_pk_mul_f16 v21, 0x36a6b93d, v17
	v_fma_f16 v23, v41, 0xb93d, -v38
	v_pk_add_f16 v20, v2, v9
	v_mul_f16_sdwa v36, v13, v57 dst_sel:DWORD dst_unused:UNUSED_PAD src0_sel:WORD_1 src1_sel:DWORD
	v_add_f16_e32 v19, v19, v15
	v_pk_fma_f16 v34, 0xba0cbb47, v12, v21 op_sel:[0,0,1] op_sel_hi:[1,1,0] neg_lo:[0,1,0] neg_hi:[0,1,0]
	v_pk_fma_f16 v35, 0xba0cbb47, v12, v21 op_sel:[0,0,1] op_sel_hi:[1,1,0]
	v_add_f16_e32 v21, v23, v18
	v_fmamk_f16 v23, v20, 0xb08e, v36
	v_pk_add_f16 v15, v6, v5 neg_lo:[0,1] neg_hi:[0,1]
	v_mov_b32_e32 v55, 0xba0c
	v_lshrrev_b32_e32 v45, 16, v20
	v_mul_f16_e32 v44, 0x3482, v13
	v_pk_add_f16 v18, v5, v6
	v_pk_mul_f16 v27, 0xb08ebbad, v20
	v_mul_f16_sdwa v39, v15, v55 dst_sel:DWORD dst_unused:UNUSED_PAD src0_sel:WORD_1 src1_sel:DWORD
	v_add_f16_e32 v19, v23, v19
	v_fma_f16 v23, v45, 0xbbad, -v44
	v_lshrrev_b32_e32 v48, 16, v18
	v_mul_f16_e32 v47, 0x3beb, v15
	v_pk_fma_f16 v40, 0x3482bbeb, v13, v27 op_sel:[0,0,1] op_sel_hi:[1,1,0] neg_lo:[0,1,0] neg_hi:[0,1,0]
	v_pk_fma_f16 v42, 0x3482bbeb, v13, v27 op_sel:[0,0,1] op_sel_hi:[1,1,0]
	v_fmamk_f16 v27, v18, 0xb93d, v39
	v_pk_mul_f16 v30, 0xb93db08e, v18
	v_add_f16_e32 v23, v23, v21
	v_fma_f16 v31, v48, 0xb08e, -v47
	v_add_f16_sdwa v32, v24, v0 dst_sel:DWORD dst_unused:UNUSED_PAD src0_sel:DWORD src1_sel:WORD_1
	v_add_f16_sdwa v50, v25, v0 dst_sel:DWORD dst_unused:UNUSED_PAD src0_sel:WORD_1 src1_sel:DWORD
	v_add_f16_e32 v27, v27, v19
	v_pk_fma_f16 v43, 0x3bebba0c, v15, v30 op_sel:[0,0,1] op_sel_hi:[1,1,0] neg_lo:[0,1,0] neg_hi:[0,1,0]
	v_pk_add_f16 v19, v7, v4 neg_lo:[0,1] neg_hi:[0,1]
	v_mov_b32_e32 v56, 0xb482
	v_pk_add_f16 v21, v4, v7
	v_pk_fma_f16 v49, 0x3bebba0c, v15, v30 op_sel:[0,0,1] op_sel_hi:[1,1,0]
	v_add_f16_e32 v30, v34, v32
	v_add_f16_e32 v58, v31, v23
	v_add_f16_sdwa v23, v35, v50 dst_sel:DWORD dst_unused:UNUSED_PAD src0_sel:WORD_1 src1_sel:DWORD
	v_mul_f16_sdwa v46, v19, v56 dst_sel:DWORD dst_unused:UNUSED_PAD src0_sel:WORD_1 src1_sel:DWORD
	v_pk_mul_f16 v32, 0xbbad3abb, v21
	v_add_f16_e32 v30, v40, v30
	v_lshrrev_b32_e32 v54, 16, v21
	v_add_f16_sdwa v23, v42, v23 dst_sel:DWORD dst_unused:UNUSED_PAD src0_sel:WORD_1 src1_sel:DWORD
	v_mul_f16_e32 v52, 0x3853, v19
	v_fmamk_f16 v31, v21, 0xbbad, v46
	v_pk_fma_f16 v50, 0x3853b482, v19, v32 op_sel:[0,0,1] op_sel_hi:[1,1,0] neg_lo:[0,1,0] neg_hi:[0,1,0]
	v_add_f16_e32 v30, v43, v30
	v_pk_fma_f16 v51, 0x3853b482, v19, v32 op_sel:[0,0,1] op_sel_hi:[1,1,0]
	v_add_f16_sdwa v23, v49, v23 dst_sel:DWORD dst_unused:UNUSED_PAD src0_sel:WORD_1 src1_sel:DWORD
	v_fma_f16 v59, v54, 0x3abb, -v52
	v_add_f16_e32 v31, v31, v27
	v_add_f16_e32 v32, v50, v30
	v_mul_lo_u16 v30, v29, 11
	v_add_f16_sdwa v23, v51, v23 dst_sel:DWORD dst_unused:UNUSED_PAD src0_sel:WORD_1 src1_sel:DWORD
	v_add_f16_e32 v27, v59, v58
	s_barrier
	buffer_gl0_inv
	s_and_saveexec_b32 s4, vcc_lo
	s_cbranch_execz .LBB0_7
; %bb.6:
	v_mul_f16_sdwa v57, v11, v57 dst_sel:DWORD dst_unused:UNUSED_PAD src0_sel:WORD_1 src1_sel:DWORD
	v_mov_b32_e32 v60, 0x3482
	v_mov_b32_e32 v63, 0x3b47
	;; [unrolled: 1-line block ×3, first 2 shown]
	v_mul_f16_e32 v58, 0xb08e, v37
	v_fmamk_f16 v65, v14, 0xb08e, v57
	v_mul_f16_sdwa v60, v12, v60 dst_sel:DWORD dst_unused:UNUSED_PAD src0_sel:WORD_1 src1_sel:DWORD
	v_mul_f16_sdwa v67, v13, v63 dst_sel:DWORD dst_unused:UNUSED_PAD src0_sel:WORD_1 src1_sel:DWORD
	v_pk_add_f16 v1, v1, v0
	v_mul_f16_sdwa v71, v12, v71 dst_sel:DWORD dst_unused:UNUSED_PAD src0_sel:WORD_1 src1_sel:DWORD
	v_add_f16_e32 v65, v65, v0
	v_fmamk_f16 v68, v17, 0xbbad, v60
	v_fmamk_f16 v69, v20, 0x36a6, v67
	v_mul_f16_e32 v59, 0xbbad, v41
	v_fmamk_f16 v62, v11, 0x3beb, v58
	v_pk_add_f16 v1, v8, v1
	v_add_f16_e32 v65, v68, v65
	v_mul_f16_sdwa v68, v15, v53 dst_sel:DWORD dst_unused:UNUSED_PAD src0_sel:WORD_1 src1_sel:DWORD
	v_fmamk_f16 v77, v17, 0xb08e, v71
	v_mul_f16_sdwa v53, v13, v53 dst_sel:DWORD dst_unused:UNUSED_PAD src0_sel:WORD_1 src1_sel:DWORD
	v_fma_f16 v71, v17, 0xb08e, -v71
	v_add_f16_e32 v65, v69, v65
	v_fmamk_f16 v70, v18, 0x3abb, v68
	v_mul_f16_e32 v61, 0x36a6, v45
	v_fmamk_f16 v64, v12, 0xb482, v59
	v_add_f16_sdwa v62, v62, v0 dst_sel:DWORD dst_unused:UNUSED_PAD src0_sel:DWORD src1_sel:WORD_1
	v_pk_add_f16 v1, v9, v1
	v_add_f16_e32 v65, v70, v65
	v_mul_f16_sdwa v70, v19, v55 dst_sel:DWORD dst_unused:UNUSED_PAD src0_sel:WORD_1 src1_sel:DWORD
	v_mul_f16_sdwa v55, v11, v55 dst_sel:DWORD dst_unused:UNUSED_PAD src0_sel:WORD_1 src1_sel:DWORD
	;; [unrolled: 1-line block ×3, first 2 shown]
	v_fmamk_f16 v66, v13, 0xbb47, v61
	v_add_f16_e32 v62, v64, v62
	v_fmamk_f16 v74, v21, 0xb93d, v70
	v_fmamk_f16 v75, v14, 0xb93d, v55
	v_fma_f16 v55, v14, 0xb93d, -v55
	v_mul_f16_e32 v64, 0x3abb, v48
	v_pk_add_f16 v1, v6, v1
	v_add_f16_e32 v65, v74, v65
	v_add_f16_e32 v75, v75, v0
	;; [unrolled: 1-line block ×4, first 2 shown]
	v_fmamk_f16 v66, v15, 0x3853, v64
	v_mul_f16_e32 v8, 0xb93d, v54
	v_add_f16_e32 v74, v77, v75
	v_fmamk_f16 v75, v20, 0x3abb, v53
	v_add_f16_e32 v55, v71, v55
	v_fma_f16 v53, v20, 0x3abb, -v53
	v_pk_add_f16 v1, v7, v1
	v_add_f16_e32 v62, v66, v62
	v_add_f16_e32 v74, v75, v74
	v_fmamk_f16 v75, v18, 0xbbad, v56
	v_add_f16_e32 v53, v53, v55
	v_fma_f16 v55, v18, 0xbbad, -v56
	v_fma_f16 v56, v14, 0xb08e, -v57
	v_mul_f16_e32 v66, 0xb93d, v37
	v_fmamk_f16 v69, v19, 0x3a0c, v8
	v_mul_f16_e32 v37, 0x36a6, v37
	v_add_f16_e32 v53, v55, v53
	v_add_f16_e32 v55, v56, v0
	v_fma_f16 v56, v17, 0xbbad, -v60
	v_bfi_b32 v24, 0xffff, v25, v24
	v_pk_add_f16 v1, v4, v1
	v_add_f16_e32 v62, v69, v62
	v_mul_f16_e32 v69, 0xb08e, v41
	v_add_f16_e32 v55, v56, v55
	v_fma_f16 v56, v20, 0x36a6, -v67
	v_add_f16_e32 v33, v33, v37
	v_mul_f16_e32 v37, 0xb93d, v41
	v_bfi_b32 v25, 0xffff, v35, v34
	v_pk_add_f16 v1, v5, v1
	v_add_f16_e32 v41, v56, v55
	v_mul_f16_e32 v55, 0x3abb, v14
	v_fma_f16 v56, v18, 0x3abb, -v68
	v_pk_add_f16 v5, v24, v0 op_sel:[0,1] op_sel_hi:[1,0]
	v_fmamk_f16 v9, v11, 0x3a0c, v66
	v_add_f16_sdwa v33, v33, v0 dst_sel:DWORD dst_unused:UNUSED_PAD src0_sel:DWORD src1_sel:WORD_1
	v_add_f16_e32 v37, v38, v37
	v_add_f16_e32 v41, v56, v41
	v_mul_f16_e32 v56, 0x36a6, v17
	v_sub_f16_e32 v22, v55, v22
	v_pk_add_f16 v1, v2, v1
	v_pk_add_f16 v2, v25, v5
	v_pk_mul_f16 v5, 0xbbad, v14 op_sel_hi:[0,1]
	v_add_f16_sdwa v9, v9, v0 dst_sel:DWORD dst_unused:UNUSED_PAD src0_sel:DWORD src1_sel:WORD_1
	v_fmamk_f16 v72, v12, 0xbbeb, v69
	v_mul_f16_e32 v73, 0x3abb, v45
	v_alignbit_b32 v38, s0, v0, 16
	v_mul_f16_e32 v45, 0xbbad, v45
	v_add_f16_e32 v33, v37, v33
	v_mul_f16_e32 v37, 0xb08e, v20
	v_add_f16_e32 v22, v22, v0
	v_sub_f16_e32 v26, v56, v26
	v_pk_add_f16 v1, v3, v1
	v_pk_fma_f16 v3, 0xb482, v11, v5 op_sel:[0,0,1] op_sel_hi:[0,1,0] neg_lo:[0,1,0] neg_hi:[0,1,0]
	v_pk_mul_f16 v14, 0x3abb, v17 op_sel_hi:[0,1]
	v_fmac_f16_e32 v66, 0xba0c, v11
	v_fmac_f16_e32 v58, 0xbbeb, v11
	v_add_f16_e32 v9, v72, v9
	v_fmamk_f16 v72, v13, 0x3853, v73
	v_mul_f16_e32 v76, 0xbbad, v48
	v_add_f16_e32 v44, v44, v45
	v_mul_f16_e32 v45, 0xb93d, v18
	v_add_f16_e32 v22, v26, v22
	v_sub_f16_e32 v7, v37, v36
	v_pk_add_f16 v1, v10, v1
	v_pk_add_f16 v10, v3, v38
	v_pk_fma_f16 v17, 0x3853, v12, v14 op_sel:[0,0,1] op_sel_hi:[0,1,0] neg_lo:[0,1,0] neg_hi:[0,1,0]
	v_pk_mul_f16 v20, 0xb93d, v20 op_sel_hi:[0,1]
	v_pk_fma_f16 v5, 0xb482, v11, v5 op_sel:[0,0,1] op_sel_hi:[0,1,0]
	v_alignbit_b32 v3, s0, v3, 16
	v_add_f16_sdwa v66, v66, v0 dst_sel:DWORD dst_unused:UNUSED_PAD src0_sel:DWORD src1_sel:WORD_1
	v_fmac_f16_e32 v69, 0x3beb, v12
	v_add_f16_sdwa v58, v58, v0 dst_sel:DWORD dst_unused:UNUSED_PAD src0_sel:DWORD src1_sel:WORD_1
	v_fmac_f16_e32 v59, 0x3482, v12
	v_add_f16_e32 v9, v72, v9
	v_fmamk_f16 v72, v15, 0x3482, v76
	v_mul_f16_e32 v48, 0xb08e, v48
	v_mul_f16_e32 v55, 0xbbad, v21
	v_add_f16_e32 v4, v7, v22
	v_sub_f16_e32 v7, v45, v39
	v_bfi_b32 v22, 0xffff, v42, v40
	v_pk_add_f16 v10, v17, v10
	v_pk_fma_f16 v11, 0xba0c, v13, v20 op_sel:[0,0,1] op_sel_hi:[0,1,0] neg_lo:[0,1,0] neg_hi:[0,1,0]
	v_pk_add_f16 v5, v5, v0 op_sel:[0,1] op_sel_hi:[1,0]
	v_pk_fma_f16 v12, 0x3853, v12, v14 op_sel:[0,0,1] op_sel_hi:[0,1,0]
	v_pk_add_f16 v0, v3, v0
	v_alignbit_b32 v3, s0, v17, 16
	v_pk_mul_f16 v14, 0x36a6, v18 op_sel_hi:[0,1]
	v_add_f16_e32 v66, v69, v66
	v_fmac_f16_e32 v73, 0xb853, v13
	v_add_f16_e32 v58, v59, v58
	v_fmac_f16_e32 v61, 0x3b47, v13
	v_add_f16_e32 v9, v72, v9
	v_mul_f16_e32 v72, 0x36a6, v54
	v_mul_f16_e32 v54, 0x3abb, v54
	v_add_f16_e32 v33, v44, v33
	v_add_f16_e32 v44, v47, v48
	v_bfi_b32 v26, 0xffff, v49, v43
	v_add_f16_e32 v4, v7, v4
	v_sub_f16_e32 v7, v55, v46
	v_pk_add_f16 v2, v22, v2
	v_pk_add_f16 v10, v11, v10
	;; [unrolled: 1-line block ×3, first 2 shown]
	v_pk_fma_f16 v12, 0xba0c, v13, v20 op_sel:[0,0,1] op_sel_hi:[0,1,0]
	v_pk_add_f16 v0, v3, v0
	v_alignbit_b32 v3, s0, v11, 16
	v_pk_fma_f16 v11, 0x3b47, v15, v14 op_sel:[0,0,1] op_sel_hi:[0,1,0] neg_lo:[0,1,0] neg_hi:[0,1,0]
	v_pk_mul_f16 v13, 0xb08e, v21 op_sel_hi:[0,1]
	v_mul_f16_sdwa v63, v19, v63 dst_sel:DWORD dst_unused:UNUSED_PAD src0_sel:WORD_1 src1_sel:DWORD
	v_add_f16_e32 v66, v73, v66
	v_fmac_f16_e32 v76, 0xb482, v15
	v_add_f16_e32 v58, v61, v58
	v_fmac_f16_e32 v64, 0xb853, v15
	v_add_f16_e32 v6, v44, v33
	v_add_f16_e32 v33, v52, v54
	v_bfi_b32 v24, 0xffff, v51, v50
	v_add_f16_e32 v4, v7, v4
	v_mov_b32_e32 v7, 2
	v_pk_add_f16 v2, v26, v2
	v_pk_add_f16 v5, v12, v5
	v_pk_fma_f16 v12, 0x3b47, v15, v14 op_sel:[0,0,1] op_sel_hi:[0,1,0]
	v_pk_add_f16 v0, v3, v0
	v_alignbit_b32 v3, s0, v11, 16
	v_pk_fma_f16 v14, 0xbbeb, v19, v13 op_sel:[0,0,1] op_sel_hi:[0,1,0] neg_lo:[0,1,0] neg_hi:[0,1,0]
	v_fmamk_f16 v77, v19, 0xbb47, v72
	v_add_f16_e32 v66, v76, v66
	v_fmac_f16_e32 v72, 0x3b47, v19
	v_fma_f16 v59, v21, 0x36a6, -v63
	v_add_f16_e32 v58, v64, v58
	v_fmac_f16_e32 v8, 0xba0c, v19
	v_fma_f16 v47, v21, 0xb93d, -v70
	v_add_f16_e32 v6, v33, v6
	v_lshlrev_b32_sdwa v7, v7, v30 dst_sel:DWORD dst_unused:UNUSED_PAD src0_sel:DWORD src1_sel:WORD_0
	v_pk_add_f16 v2, v24, v2
	v_pk_add_f16 v10, v11, v10
	;; [unrolled: 1-line block ×3, first 2 shown]
	v_pk_fma_f16 v11, 0xbbeb, v19, v13 op_sel:[0,0,1] op_sel_hi:[0,1,0]
	v_pk_add_f16 v0, v3, v0
	v_alignbit_b32 v3, s0, v14, 16
	v_add_f16_e32 v74, v75, v74
	v_fmamk_f16 v75, v21, 0x36a6, v63
	v_add_f16_e32 v57, v72, v66
	v_add_f16_e32 v53, v59, v53
	;; [unrolled: 1-line block ×4, first 2 shown]
	ds_write_b32 v7, v1
	v_alignbit_b32 v1, v6, v2, 16
	v_pk_add_f16 v6, v14, v10
	v_pk_add_f16 v5, v11, v5
	;; [unrolled: 1-line block ×3, first 2 shown]
	v_add_f16_e32 v9, v77, v9
	v_add_f16_e32 v69, v75, v74
	v_pack_b32_f16 v2, v4, v2
	v_pack_b32_f16 v3, v53, v57
	v_pack_b32_f16 v4, v41, v8
	v_alignbit_b32 v6, v6, v5, 16
	v_pack_b32_f16 v0, v0, v5
	v_pack_b32_f16 v5, v65, v62
	;; [unrolled: 1-line block ×3, first 2 shown]
	v_perm_b32 v9, v32, v31, 0x5040100
	v_perm_b32 v10, v27, v23, 0x5040100
	ds_write2_b32 v7, v2, v1 offset0:1 offset1:2
	ds_write2_b32 v7, v4, v3 offset0:3 offset1:4
	;; [unrolled: 1-line block ×5, first 2 shown]
.LBB0_7:
	s_or_b32 exec_lo, exec_lo, s4
	v_and_b32_e32 v0, 0xff, v29
	s_load_dwordx4 s[4:7], s[0:1], 0x0
	s_waitcnt lgkmcnt(0)
	s_barrier
	buffer_gl0_inv
	v_mul_lo_u16 v0, 0x75, v0
	v_add_nc_u32_e32 v36, 0x200, v28
	v_add_nc_u32_e32 v14, 0x400, v28
	v_mov_b32_e32 v20, 0x63
	v_cmp_gt_u16_e64 s0, 44, v29
	v_lshrrev_b16 v0, 8, v0
	v_sub_nc_u16 v1, v29, v0
	v_lshrrev_b16 v1, 1, v1
	v_and_b32_e32 v1, 0x7f, v1
	v_add_nc_u16 v0, v1, v0
	v_lshrrev_b16 v17, 3, v0
	v_mul_lo_u16 v0, v17, 11
	v_mul_u32_u24_sdwa v17, v17, v20 dst_sel:DWORD dst_unused:UNUSED_PAD src0_sel:WORD_0 src1_sel:DWORD
	v_sub_nc_u16 v0, v29, v0
	v_and_b32_e32 v18, 0xff, v0
	v_lshlrev_b32_e32 v0, 5, v18
	v_add_lshl_u32 v33, v17, v18, 2
	s_clause 0x1
	global_load_dwordx4 v[8:11], v0, s[2:3]
	global_load_dwordx4 v[4:7], v0, s[2:3] offset:16
	ds_read2_b32 v[0:1], v28 offset1:55
	ds_read2_b32 v[2:3], v28 offset0:110 offset1:165
	ds_read_b32 v19, v28 offset:1760
	ds_read2_b32 v[12:13], v36 offset0:92 offset1:147
	ds_read2_b32 v[14:15], v14 offset0:74 offset1:129
	s_waitcnt vmcnt(0) lgkmcnt(0)
	s_barrier
	buffer_gl0_inv
	v_lshrrev_b32_e32 v26, 16, v19
	v_lshrrev_b32_e32 v22, 16, v1
	;; [unrolled: 1-line block ×9, first 2 shown]
	v_mul_f16_sdwa v17, v22, v8 dst_sel:DWORD dst_unused:UNUSED_PAD src0_sel:DWORD src1_sel:WORD_1
	v_mul_f16_sdwa v18, v1, v8 dst_sel:DWORD dst_unused:UNUSED_PAD src0_sel:DWORD src1_sel:WORD_1
	v_mul_f16_sdwa v38, v24, v9 dst_sel:DWORD dst_unused:UNUSED_PAD src0_sel:DWORD src1_sel:WORD_1
	v_mul_f16_sdwa v39, v2, v9 dst_sel:DWORD dst_unused:UNUSED_PAD src0_sel:DWORD src1_sel:WORD_1
	v_mul_f16_sdwa v42, v20, v11 dst_sel:DWORD dst_unused:UNUSED_PAD src0_sel:DWORD src1_sel:WORD_1
	v_mul_f16_sdwa v44, v34, v4 dst_sel:DWORD dst_unused:UNUSED_PAD src0_sel:DWORD src1_sel:WORD_1
	v_mul_f16_sdwa v48, v37, v6 dst_sel:DWORD dst_unused:UNUSED_PAD src0_sel:DWORD src1_sel:WORD_1
	v_mul_f16_sdwa v49, v15, v6 dst_sel:DWORD dst_unused:UNUSED_PAD src0_sel:DWORD src1_sel:WORD_1
	v_mul_f16_sdwa v50, v26, v7 dst_sel:DWORD dst_unused:UNUSED_PAD src0_sel:DWORD src1_sel:WORD_1
	v_mul_f16_sdwa v51, v19, v7 dst_sel:DWORD dst_unused:UNUSED_PAD src0_sel:DWORD src1_sel:WORD_1
	v_mul_f16_sdwa v40, v25, v10 dst_sel:DWORD dst_unused:UNUSED_PAD src0_sel:DWORD src1_sel:WORD_1
	v_mul_f16_sdwa v41, v3, v10 dst_sel:DWORD dst_unused:UNUSED_PAD src0_sel:DWORD src1_sel:WORD_1
	v_mul_f16_sdwa v43, v12, v11 dst_sel:DWORD dst_unused:UNUSED_PAD src0_sel:DWORD src1_sel:WORD_1
	v_mul_f16_sdwa v45, v13, v4 dst_sel:DWORD dst_unused:UNUSED_PAD src0_sel:DWORD src1_sel:WORD_1
	v_mul_f16_sdwa v46, v35, v5 dst_sel:DWORD dst_unused:UNUSED_PAD src0_sel:DWORD src1_sel:WORD_1
	v_mul_f16_sdwa v47, v14, v5 dst_sel:DWORD dst_unused:UNUSED_PAD src0_sel:DWORD src1_sel:WORD_1
	v_fma_f16 v1, v1, v8, -v17
	v_fmac_f16_e32 v18, v22, v8
	v_fma_f16 v2, v2, v9, -v38
	v_fmac_f16_e32 v39, v24, v9
	v_fma_f16 v12, v12, v11, -v42
	v_fma_f16 v13, v13, v4, -v44
	;; [unrolled: 1-line block ×3, first 2 shown]
	v_fmac_f16_e32 v51, v26, v7
	v_fma_f16 v15, v15, v6, -v48
	v_fmac_f16_e32 v49, v37, v6
	v_fma_f16 v3, v3, v10, -v40
	v_fmac_f16_e32 v41, v25, v10
	v_fmac_f16_e32 v43, v20, v11
	v_fmac_f16_e32 v45, v34, v4
	v_fma_f16 v14, v14, v5, -v46
	v_fmac_f16_e32 v47, v35, v5
	v_add_f16_e32 v19, v1, v17
	v_add_f16_e32 v20, v18, v51
	;; [unrolled: 1-line block ×4, first 2 shown]
	v_sub_f16_e32 v1, v1, v17
	v_sub_f16_e32 v17, v18, v51
	v_sub_f16_e32 v18, v12, v13
	v_add_f16_e32 v25, v3, v14
	v_add_f16_e32 v26, v41, v47
	v_sub_f16_e32 v2, v2, v15
	v_sub_f16_e32 v15, v39, v49
	v_add_f16_e32 v35, v12, v13
	v_add_f16_e32 v37, v43, v45
	v_mul_f16_e32 v39, 0x3924, v1
	v_mul_f16_e32 v42, 0xb924, v18
	v_add_f16_e32 v52, v22, v19
	v_add_f16_e32 v53, v24, v20
	v_mul_f16_e32 v54, 0x3be1, v18
	v_sub_f16_e32 v3, v3, v14
	v_fmac_f16_e32 v39, 0x3be1, v2
	v_fmac_f16_e32 v42, 0x3be1, v1
	v_add_f16_e32 v56, v35, v52
	v_add_f16_e32 v57, v37, v53
	v_fma_f16 v54, v2, 0xb924, -v54
	v_add_f16_e32 v52, v25, v52
	v_add_f16_e32 v53, v26, v53
	;; [unrolled: 1-line block ×3, first 2 shown]
	v_fmac_f16_e32 v39, 0x3aee, v3
	v_fmac_f16_e32 v42, 0xbaee, v3
	;; [unrolled: 1-line block ×3, first 2 shown]
	v_add_f16_e32 v3, v12, v52
	v_add_f16_e32 v12, v43, v53
	v_sub_f16_e32 v34, v43, v45
	v_sub_f16_e32 v48, v48, v2
	v_fmac_f16_e32 v42, 0x3579, v2
	v_add_f16_e32 v2, v13, v3
	v_add_f16_e32 v3, v45, v12
	v_sub_f16_e32 v14, v41, v47
	v_mul_f16_e32 v44, 0xb924, v34
	v_fmamk_f16 v46, v35, 0x3a21, v0
	v_fmamk_f16 v47, v37, 0x3a21, v21
	v_mul_f16_e32 v40, 0x3924, v17
	v_fmamk_f16 v38, v19, 0x3a21, v0
	v_fmamk_f16 v41, v20, 0x3a21, v21
	v_add_f16_e32 v50, v25, v0
	v_add_f16_e32 v51, v26, v21
	v_mul_f16_e32 v55, 0x3be1, v34
	v_fmac_f16_e32 v54, 0x3579, v1
	v_add_f16_e32 v1, v2, v0
	v_add_f16_e32 v2, v3, v21
	v_fmac_f16_e32 v0, 0x3a21, v22
	v_fmac_f16_e32 v21, 0x3a21, v24
	;; [unrolled: 1-line block ×8, first 2 shown]
	v_fma_f16 v55, v15, 0xb924, -v55
	v_fmac_f16_e32 v0, 0x318f, v35
	v_fmac_f16_e32 v21, 0x318f, v37
	v_add_f16_e32 v49, v34, v17
	v_fmac_f16_e32 v44, 0xbaee, v14
	v_fmac_f16_e32 v46, -0.5, v25
	v_fmac_f16_e32 v47, -0.5, v26
	v_fmac_f16_e32 v40, 0x3aee, v14
	v_fmac_f16_e32 v38, -0.5, v25
	v_fmac_f16_e32 v41, -0.5, v26
	;; [unrolled: 3-line block ×3, first 2 shown]
	v_sub_f16_e32 v49, v49, v15
	v_fmac_f16_e32 v50, -0.5, v56
	v_fmac_f16_e32 v51, -0.5, v57
	v_fmac_f16_e32 v44, 0x3579, v15
	v_fmac_f16_e32 v46, 0xbb84, v22
	;; [unrolled: 1-line block ×10, first 2 shown]
	v_mul_f16_e32 v58, 0x3aee, v48
	v_mul_f16_e32 v59, 0x3aee, v49
	v_fmac_f16_e32 v50, 0x3aee, v49
	v_fmac_f16_e32 v51, 0xbaee, v48
	v_add_f16_e32 v13, v44, v46
	v_sub_f16_e32 v14, v47, v42
	v_add_f16_e32 v3, v40, v38
	v_sub_f16_e32 v12, v41, v39
	;; [unrolled: 2-line block ×3, first 2 shown]
	v_fma_f16 v18, -2.0, v59, v50
	v_fma_f16 v38, 2.0, v58, v51
	v_fma_f16 v25, -2.0, v44, v13
	v_fma_f16 v42, 2.0, v42, v14
	;; [unrolled: 2-line block ×4, first 2 shown]
	v_pack_b32_f16 v1, v1, v2
	v_pack_b32_f16 v2, v3, v12
	;; [unrolled: 1-line block ×9, first 2 shown]
	ds_write2_b32 v33, v1, v2 offset1:11
	ds_write2_b32 v33, v3, v15 offset0:22 offset1:33
	ds_write2_b32 v33, v12, v13 offset0:66 offset1:77
	ds_write_b32 v33, v14 offset:352
	ds_write2_b32 v33, v0, v19 offset0:44 offset1:55
	s_waitcnt lgkmcnt(0)
	s_barrier
	buffer_gl0_inv
	ds_read2_b32 v[19:20], v28 offset1:99
	ds_read2_b32 v[21:22], v36 offset0:70 offset1:169
	ds_read_b32 v24, v28 offset:1584
	s_and_saveexec_b32 s1, s0
	s_cbranch_execz .LBB0_9
; %bb.8:
	ds_read2_b32 v[17:18], v28 offset0:55 offset1:154
	ds_read2_b32 v[25:26], v36 offset0:125 offset1:224
	ds_read_b32 v23, v28 offset:1804
	s_waitcnt lgkmcnt(2)
	v_lshrrev_b32_e32 v34, 16, v17
	v_lshrrev_b32_e32 v38, 16, v18
	s_waitcnt lgkmcnt(1)
	v_lshrrev_b32_e32 v42, 16, v25
	v_lshrrev_b32_e32 v41, 16, v26
	s_waitcnt lgkmcnt(0)
	v_lshrrev_b32_e32 v27, 16, v23
.LBB0_9:
	s_or_b32 exec_lo, exec_lo, s1
	v_lshlrev_b32_e32 v0, 4, v29
	s_waitcnt lgkmcnt(2)
	v_lshrrev_b32_e32 v37, 16, v20
	s_waitcnt lgkmcnt(1)
	v_lshrrev_b32_e32 v39, 16, v21
	v_lshrrev_b32_e32 v40, 16, v22
	s_waitcnt lgkmcnt(0)
	v_lshrrev_b32_e32 v43, 16, v24
	global_load_dwordx4 v[12:15], v0, s[2:3] offset:352
	v_add_co_u32 v0, s1, v29, 55
	v_add_co_ci_u32_e64 v1, null, 0, 0, s1
	v_add_co_u32 v2, s1, 0xffffffd4, v29
	v_add_co_ci_u32_e64 v3, null, 0, -1, s1
	v_lshrrev_b32_e32 v35, 16, v19
	v_cndmask_b32_e64 v0, v2, v0, s0
	v_cndmask_b32_e64 v1, v3, v1, s0
	v_lshlrev_b64 v[0:1], 4, v[0:1]
	v_add_co_u32 v0, s1, s2, v0
	v_add_co_ci_u32_e64 v1, s1, s3, v1, s1
	global_load_dwordx4 v[0:3], v[0:1], off offset:352
	s_waitcnt vmcnt(1)
	v_mul_f16_sdwa v44, v37, v12 dst_sel:DWORD dst_unused:UNUSED_PAD src0_sel:DWORD src1_sel:WORD_1
	v_mul_f16_sdwa v45, v20, v12 dst_sel:DWORD dst_unused:UNUSED_PAD src0_sel:DWORD src1_sel:WORD_1
	;; [unrolled: 1-line block ×8, first 2 shown]
	v_fma_f16 v20, v20, v12, -v44
	v_fmac_f16_e32 v45, v37, v12
	v_fma_f16 v21, v21, v13, -v46
	v_fmac_f16_e32 v47, v39, v13
	;; [unrolled: 2-line block ×3, first 2 shown]
	v_fmac_f16_e32 v49, v40, v14
	v_fma_f16 v43, v24, v15, -v50
	v_add_f16_e32 v22, v19, v20
	v_add_f16_e32 v24, v21, v39
	v_sub_f16_e32 v44, v45, v51
	v_sub_f16_e32 v37, v20, v21
	;; [unrolled: 1-line block ×3, first 2 shown]
	v_add_f16_e32 v48, v20, v43
	v_sub_f16_e32 v50, v21, v20
	v_sub_f16_e32 v52, v39, v43
	v_add_f16_e32 v53, v35, v45
	v_add_f16_e32 v54, v47, v49
	v_sub_f16_e32 v55, v20, v43
	v_sub_f16_e32 v20, v45, v47
	;; [unrolled: 1-line block ×3, first 2 shown]
	v_add_f16_e32 v58, v45, v51
	v_sub_f16_e32 v45, v47, v45
	v_sub_f16_e32 v59, v49, v51
	;; [unrolled: 1-line block ×4, first 2 shown]
	v_add_f16_e32 v21, v22, v21
	v_fma_f16 v22, -0.5, v24, v19
	v_add_f16_e32 v60, v37, v40
	v_fmac_f16_e32 v19, -0.5, v48
	v_add_f16_e32 v48, v50, v52
	v_add_f16_e32 v40, v53, v47
	v_fma_f16 v37, -0.5, v54, v35
	v_add_f16_e32 v47, v20, v57
	v_fmac_f16_e32 v35, -0.5, v58
	v_add_f16_e32 v45, v45, v59
	s_waitcnt vmcnt(0)
	v_mul_f16_sdwa v20, v38, v0 dst_sel:DWORD dst_unused:UNUSED_PAD src0_sel:DWORD src1_sel:WORD_1
	v_mul_f16_sdwa v50, v18, v0 dst_sel:DWORD dst_unused:UNUSED_PAD src0_sel:DWORD src1_sel:WORD_1
	;; [unrolled: 1-line block ×8, first 2 shown]
	v_add_f16_e32 v61, v21, v39
	v_add_f16_e32 v49, v40, v49
	v_fmamk_f16 v40, v55, 0xbb9c, v37
	v_fmac_f16_e32 v37, 0x3b9c, v55
	v_fmamk_f16 v39, v56, 0x3b9c, v35
	v_fmac_f16_e32 v35, 0xbb9c, v56
	v_fma_f16 v18, v18, v0, -v20
	v_fmac_f16_e32 v50, v38, v0
	v_fma_f16 v25, v25, v1, -v52
	;; [unrolled: 2-line block ×4, first 2 shown]
	v_fmac_f16_e32 v59, v27, v3
	v_fmamk_f16 v21, v44, 0x3b9c, v22
	v_fmac_f16_e32 v22, 0xbb9c, v44
	v_fmamk_f16 v24, v46, 0xbb9c, v19
	v_fmac_f16_e32 v19, 0x3b9c, v46
	v_add_f16_e32 v20, v61, v43
	v_add_f16_e32 v38, v49, v51
	v_fmac_f16_e32 v40, 0xb8b4, v56
	v_fmac_f16_e32 v37, 0x38b4, v56
	;; [unrolled: 1-line block ×4, first 2 shown]
	v_add_f16_e32 v27, v17, v18
	v_add_f16_e32 v41, v25, v26
	v_sub_f16_e32 v42, v18, v25
	v_sub_f16_e32 v43, v23, v26
	v_add_f16_e32 v49, v18, v23
	v_add_f16_e32 v54, v34, v50
	;; [unrolled: 1-line block ×4, first 2 shown]
	v_fmac_f16_e32 v21, 0x38b4, v46
	v_fmac_f16_e32 v22, 0xb8b4, v46
	;; [unrolled: 1-line block ×4, first 2 shown]
	v_sub_f16_e32 v44, v50, v59
	v_sub_f16_e32 v46, v53, v57
	;; [unrolled: 1-line block ×5, first 2 shown]
	v_fmac_f16_e32 v40, 0x34f2, v47
	v_fmac_f16_e32 v37, 0x34f2, v47
	v_add_f16_e32 v25, v27, v25
	v_fma_f16 v18, -0.5, v41, v17
	v_add_f16_e32 v47, v42, v43
	v_fmac_f16_e32 v17, -0.5, v49
	v_add_f16_e32 v42, v54, v53
	v_fma_f16 v41, -0.5, v55, v34
	v_fmac_f16_e32 v34, -0.5, v63
	v_sub_f16_e32 v52, v26, v23
	v_sub_f16_e32 v61, v50, v53
	;; [unrolled: 1-line block ×5, first 2 shown]
	v_add_f16_e32 v25, v25, v26
	v_fmamk_f16 v26, v44, 0x3b9c, v18
	v_fmac_f16_e32 v18, 0xbb9c, v44
	v_fmamk_f16 v27, v46, 0xbb9c, v17
	v_fmac_f16_e32 v17, 0x3b9c, v46
	v_add_f16_e32 v55, v42, v57
	v_fmamk_f16 v43, v56, 0xbb9c, v41
	v_fmac_f16_e32 v41, 0x3b9c, v56
	v_fmamk_f16 v42, v58, 0x3b9c, v34
	v_fmac_f16_e32 v34, 0xbb9c, v58
	v_fmac_f16_e32 v21, 0x34f2, v60
	;; [unrolled: 1-line block ×4, first 2 shown]
	v_add_f16_e32 v48, v51, v52
	v_add_f16_e32 v49, v61, v62
	v_add_f16_e32 v50, v50, v64
	v_fmac_f16_e32 v26, 0x38b4, v46
	v_fmac_f16_e32 v18, 0xb8b4, v46
	;; [unrolled: 1-line block ×11, first 2 shown]
	v_pack_b32_f16 v45, v20, v38
	v_pack_b32_f16 v51, v21, v40
	v_add_f16_e32 v23, v25, v23
	v_add_f16_e32 v44, v55, v59
	v_fmac_f16_e32 v26, 0x34f2, v47
	v_fmac_f16_e32 v18, 0x34f2, v47
	;; [unrolled: 1-line block ×8, first 2 shown]
	v_pack_b32_f16 v52, v24, v39
	v_pack_b32_f16 v53, v19, v35
	;; [unrolled: 1-line block ×3, first 2 shown]
	ds_write2_b32 v28, v45, v51 offset1:99
	ds_write2_b32 v36, v52, v53 offset0:70 offset1:169
	ds_write_b32 v28, v54 offset:1584
	s_and_saveexec_b32 s1, s0
	s_cbranch_execz .LBB0_11
; %bb.10:
	v_perm_b32 v25, v44, v23, 0x5040100
	v_perm_b32 v36, v43, v26, 0x5040100
	;; [unrolled: 1-line block ×4, first 2 shown]
	v_add_nc_u32_e32 v47, 0x200, v28
	v_perm_b32 v48, v41, v18, 0x5040100
	ds_write2_b32 v28, v25, v36 offset0:55 offset1:154
	ds_write2_b32 v47, v45, v46 offset0:125 offset1:224
	ds_write_b32 v28, v48 offset:1804
.LBB0_11:
	s_or_b32 exec_lo, exec_lo, s1
	s_waitcnt lgkmcnt(0)
	s_barrier
	buffer_gl0_inv
	s_and_saveexec_b32 s1, vcc_lo
	s_cbranch_execz .LBB0_13
; %bb.12:
	global_load_dword v25, v28, s[20:21] offset:1980
	s_add_u32 s2, s20, 0x7bc
	s_addc_u32 s3, s21, 0
	s_clause 0x9
	global_load_dword v36, v28, s[2:3] offset:180
	global_load_dword v55, v28, s[2:3] offset:360
	;; [unrolled: 1-line block ×10, first 2 shown]
	ds_read_b32 v45, v28
	v_add_nc_u32_e32 v64, 0x400, v28
	s_waitcnt lgkmcnt(0)
	v_lshrrev_b32_e32 v46, 16, v45
	s_waitcnt vmcnt(10)
	v_mul_f16_sdwa v47, v46, v25 dst_sel:DWORD dst_unused:UNUSED_PAD src0_sel:DWORD src1_sel:WORD_1
	v_mul_f16_sdwa v48, v45, v25 dst_sel:DWORD dst_unused:UNUSED_PAD src0_sel:DWORD src1_sel:WORD_1
	v_fma_f16 v45, v45, v25, -v47
	v_fmac_f16_e32 v48, v46, v25
	v_pack_b32_f16 v25, v45, v48
	ds_write_b32 v28, v25
	v_add_nc_u32_e32 v25, 0x200, v28
	ds_read2_b32 v[45:46], v28 offset0:45 offset1:90
	ds_read2_b32 v[47:48], v28 offset0:135 offset1:180
	;; [unrolled: 1-line block ×5, first 2 shown]
	s_waitcnt lgkmcnt(4)
	v_lshrrev_b32_e32 v65, 16, v45
	s_waitcnt vmcnt(9)
	v_mul_f16_sdwa v66, v45, v36 dst_sel:DWORD dst_unused:UNUSED_PAD src0_sel:DWORD src1_sel:WORD_1
	v_lshrrev_b32_e32 v67, 16, v46
	s_waitcnt vmcnt(8)
	v_mul_f16_sdwa v68, v46, v55 dst_sel:DWORD dst_unused:UNUSED_PAD src0_sel:DWORD src1_sel:WORD_1
	s_waitcnt lgkmcnt(3)
	v_lshrrev_b32_e32 v69, 16, v47
	s_waitcnt vmcnt(7)
	v_mul_f16_sdwa v70, v47, v56 dst_sel:DWORD dst_unused:UNUSED_PAD src0_sel:DWORD src1_sel:WORD_1
	v_lshrrev_b32_e32 v71, 16, v48
	s_waitcnt vmcnt(6)
	v_mul_f16_sdwa v72, v48, v57 dst_sel:DWORD dst_unused:UNUSED_PAD src0_sel:DWORD src1_sel:WORD_1
	;; [unrolled: 7-line block ×4, first 2 shown]
	s_waitcnt lgkmcnt(0)
	v_lshrrev_b32_e32 v81, 16, v53
	s_waitcnt vmcnt(1)
	v_mul_f16_sdwa v82, v53, v62 dst_sel:DWORD dst_unused:UNUSED_PAD src0_sel:DWORD src1_sel:WORD_1
	v_lshrrev_b32_e32 v83, 16, v54
	v_mul_f16_sdwa v85, v65, v36 dst_sel:DWORD dst_unused:UNUSED_PAD src0_sel:DWORD src1_sel:WORD_1
	v_fmac_f16_e32 v66, v65, v36
	v_mul_f16_sdwa v65, v67, v55 dst_sel:DWORD dst_unused:UNUSED_PAD src0_sel:DWORD src1_sel:WORD_1
	v_fmac_f16_e32 v68, v67, v55
	;; [unrolled: 2-line block ×7, first 2 shown]
	v_mul_f16_sdwa v77, v79, v61 dst_sel:DWORD dst_unused:UNUSED_PAD src0_sel:DWORD src1_sel:WORD_1
	s_waitcnt vmcnt(0)
	v_mul_f16_sdwa v84, v54, v63 dst_sel:DWORD dst_unused:UNUSED_PAD src0_sel:DWORD src1_sel:WORD_1
	v_fmac_f16_e32 v80, v79, v61
	v_mul_f16_sdwa v79, v81, v62 dst_sel:DWORD dst_unused:UNUSED_PAD src0_sel:DWORD src1_sel:WORD_1
	v_fmac_f16_e32 v82, v81, v62
	v_mul_f16_sdwa v81, v83, v63 dst_sel:DWORD dst_unused:UNUSED_PAD src0_sel:DWORD src1_sel:WORD_1
	v_fma_f16 v36, v45, v36, -v85
	v_fma_f16 v45, v46, v55, -v65
	;; [unrolled: 1-line block ×8, first 2 shown]
	v_fmac_f16_e32 v84, v83, v63
	v_fma_f16 v52, v53, v62, -v79
	v_fma_f16 v53, v54, v63, -v81
	v_pack_b32_f16 v36, v36, v66
	v_pack_b32_f16 v45, v45, v68
	;; [unrolled: 1-line block ×10, first 2 shown]
	ds_write2_b32 v28, v36, v45 offset0:45 offset1:90
	ds_write2_b32 v28, v46, v47 offset0:135 offset1:180
	;; [unrolled: 1-line block ×5, first 2 shown]
.LBB0_13:
	s_or_b32 exec_lo, exec_lo, s1
	s_waitcnt lgkmcnt(0)
	s_barrier
	buffer_gl0_inv
	s_and_saveexec_b32 s1, vcc_lo
	s_cbranch_execz .LBB0_15
; %bb.14:
	v_add_nc_u32_e32 v17, 0x400, v28
	ds_read2_b32 v[20:21], v28 offset1:45
	ds_read2_b32 v[24:25], v28 offset0:90 offset1:135
	ds_read2_b32 v[22:23], v28 offset0:180 offset1:225
	ds_read_b32 v31, v28 offset:1800
	ds_read2_b32 v[26:27], v17 offset0:14 offset1:59
	ds_read2_b32 v[17:18], v17 offset0:104 offset1:149
	s_waitcnt lgkmcnt(5)
	v_lshrrev_b32_e32 v38, 16, v20
	v_lshrrev_b32_e32 v40, 16, v21
	s_waitcnt lgkmcnt(4)
	v_lshrrev_b32_e32 v39, 16, v24
	v_lshrrev_b32_e32 v35, 16, v25
	;; [unrolled: 3-line block ×3, first 2 shown]
	s_waitcnt lgkmcnt(2)
	v_lshrrev_b32_e32 v32, 16, v31
	s_waitcnt lgkmcnt(1)
	v_lshrrev_b32_e32 v43, 16, v26
	v_lshrrev_b32_e32 v42, 16, v27
	s_waitcnt lgkmcnt(0)
	v_lshrrev_b32_e32 v34, 16, v17
	v_lshrrev_b32_e32 v41, 16, v18
	v_mov_b32_e32 v19, v25
.LBB0_15:
	s_or_b32 exec_lo, exec_lo, s1
	v_sub_f16_e32 v57, v40, v32
	v_add_f16_e32 v61, v32, v40
	v_add_f16_e32 v45, v31, v21
	v_sub_f16_e32 v48, v21, v31
	v_sub_f16_e32 v55, v39, v41
	v_mul_f16_e32 v64, 0xbb47, v57
	v_mul_f16_e32 v68, 0x36a6, v61
	v_add_f16_e32 v62, v41, v39
	v_add_f16_e32 v46, v18, v24
	v_mul_f16_e32 v66, 0xba0c, v55
	v_fma_f16 v25, v45, 0x36a6, -v64
	v_fmamk_f16 v36, v48, 0xbb47, v68
	v_sub_f16_e32 v47, v24, v18
	v_mul_f16_e32 v71, 0xb93d, v62
	v_sub_f16_e32 v56, v35, v34
	v_add_f16_e32 v25, v20, v25
	v_add_f16_e32 v36, v38, v36
	v_fma_f16 v51, v46, 0xb93d, -v66
	v_add_f16_e32 v63, v34, v35
	v_fmamk_f16 v52, v47, 0xba0c, v71
	v_add_f16_e32 v49, v17, v19
	v_mul_f16_e32 v67, 0x3482, v56
	v_sub_f16_e32 v50, v19, v17
	v_mul_f16_e32 v72, 0xbbad, v63
	v_add_f16_e32 v25, v51, v25
	v_add_f16_e32 v36, v52, v36
	v_sub_f16_e32 v58, v37, v42
	v_fma_f16 v52, v49, 0xbbad, -v67
	v_add_f16_e32 v65, v42, v37
	v_fmamk_f16 v53, v50, 0x3482, v72
	v_add_f16_e32 v51, v27, v22
	v_mul_f16_e32 v70, 0x3beb, v58
	v_add_f16_e32 v25, v52, v25
	v_sub_f16_e32 v52, v22, v27
	v_mul_f16_e32 v74, 0xb08e, v65
	v_sub_f16_e32 v59, v44, v43
	v_add_f16_e32 v60, v43, v44
	v_add_f16_e32 v36, v53, v36
	v_fma_f16 v75, v51, 0xb08e, -v70
	v_fmamk_f16 v76, v52, 0x3beb, v74
	v_add_f16_e32 v53, v26, v23
	v_sub_f16_e32 v54, v23, v26
	v_mul_f16_e32 v69, 0x3853, v59
	v_mul_f16_e32 v73, 0x3abb, v60
	v_add_f16_e32 v25, v75, v25
	v_add_f16_e32 v36, v76, v36
	v_fma_f16 v75, v53, 0x3abb, -v69
	v_fmamk_f16 v76, v54, 0x3853, v73
	s_barrier
	buffer_gl0_inv
	v_add_f16_e32 v25, v75, v25
	v_add_f16_e32 v36, v76, v36
	s_and_saveexec_b32 s1, vcc_lo
	s_cbranch_execz .LBB0_17
; %bb.16:
	v_mul_f16_e32 v75, 0xbbeb, v48
	v_mul_f16_e32 v76, 0x3482, v47
	;; [unrolled: 1-line block ×5, first 2 shown]
	v_fmamk_f16 v80, v61, 0xb08e, v75
	v_fmamk_f16 v84, v62, 0xbbad, v76
	v_mul_f16_e32 v86, 0xba0c, v48
	v_fmamk_f16 v88, v63, 0x36a6, v77
	v_mul_f16_e32 v79, 0xba0c, v54
	v_add_f16_e32 v80, v38, v80
	v_mul_f16_e32 v82, 0x3482, v55
	v_mul_f16_e32 v87, 0x3beb, v47
	v_fma_f16 v90, v45, 0xb08e, -v81
	v_fmamk_f16 v91, v61, 0xb93d, v86
	v_add_f16_e32 v80, v84, v80
	v_fmamk_f16 v84, v65, 0x3abb, v78
	v_fmamk_f16 v89, v60, 0xb93d, v79
	;; [unrolled: 1-line block ×3, first 2 shown]
	v_add_f16_e32 v90, v20, v90
	v_add_f16_e32 v80, v88, v80
	v_fma_f16 v88, v46, 0xbbad, -v82
	v_add_f16_e32 v91, v38, v91
	v_mul_f16_e32 v83, 0x3b47, v56
	v_mul_f16_e32 v94, 0x3b47, v54
	v_add_f16_e32 v80, v84, v80
	v_mul_f16_e32 v84, 0xb853, v50
	v_add_f16_e32 v88, v88, v90
	v_add_f16_e32 v90, v92, v91
	v_mul_f16_e32 v91, 0xb482, v52
	v_add_f16_e32 v80, v89, v80
	v_fmamk_f16 v89, v63, 0x3abb, v84
	v_mul_f16_e32 v85, 0xb853, v58
	v_fma_f16 v93, v49, 0x36a6, -v83
	v_mul_f16_e32 v96, 0xb482, v48
	v_mul_f16_e32 v98, 0x3853, v47
	v_add_f16_e32 v89, v89, v90
	v_fmamk_f16 v90, v65, 0xbbad, v91
	v_add_f16_e32 v88, v93, v88
	v_fma_f16 v92, v51, 0x3abb, -v85
	v_mul_f16_e32 v93, 0xba0c, v59
	v_mul_f16_e32 v95, 0xba0c, v57
	v_add_f16_e32 v89, v90, v89
	v_fmamk_f16 v90, v60, 0x36a6, v94
	v_add_f16_e32 v88, v92, v88
	v_fma_f16 v92, v53, 0xb93d, -v93
	v_fmamk_f16 v101, v62, 0x3abb, v98
	v_mul_f16_e32 v97, 0x3beb, v55
	v_add_f16_e32 v89, v90, v89
	v_fmamk_f16 v90, v61, 0xbbad, v96
	v_add_f16_e32 v88, v92, v88
	v_fma_f16 v92, v45, 0xb93d, -v95
	v_fma_f16 v99, v46, 0xb08e, -v97
	v_mul_f16_e32 v100, 0xb853, v56
	v_add_f16_e32 v90, v38, v90
	v_mul_f16_e32 v102, 0xba0c, v50
	v_add_f16_e32 v92, v20, v92
	v_mul_f16_e32 v107, 0x3853, v55
	v_mul_f16_e32 v103, 0xb482, v58
	v_add_f16_e32 v90, v101, v90
	v_mul_f16_e32 v101, 0xb482, v57
	v_add_f16_e32 v92, v99, v92
	v_fma_f16 v99, v49, 0x3abb, -v100
	v_fmamk_f16 v104, v63, 0xb93d, v102
	v_mul_f16_e32 v105, 0x3b47, v52
	v_fma_f16 v106, v45, 0xbbad, -v101
	v_fma_f16 v109, v46, 0x3abb, -v107
	v_mul_f16_e32 v110, 0xba0c, v56
	v_add_f16_e32 v92, v99, v92
	v_fma_f16 v99, v51, 0xbbad, -v103
	v_add_f16_e32 v106, v20, v106
	v_mul_f16_e32 v108, 0x3b47, v59
	v_add_f16_e32 v90, v104, v90
	v_fmamk_f16 v104, v65, 0x36a6, v105
	v_mul_f16_e32 v111, 0xbbeb, v54
	v_add_f16_e32 v106, v109, v106
	v_fma_f16 v109, v49, 0xb93d, -v110
	v_mul_f16_e32 v112, 0x3b47, v58
	v_add_f16_e32 v92, v99, v92
	v_fma_f16 v99, v53, 0x36a6, -v108
	v_add_f16_e32 v90, v104, v90
	v_fma_f16 v96, v61, 0xbbad, -v96
	v_fmamk_f16 v104, v60, 0xb08e, v111
	v_add_f16_e32 v106, v109, v106
	v_fma_f16 v109, v51, 0x36a6, -v112
	v_mul_f16_e32 v113, 0xbbeb, v59
	v_add_f16_e32 v96, v38, v96
	v_fma_f16 v98, v62, 0x3abb, -v98
	v_add_f16_e32 v92, v99, v92
	v_add_f16_e32 v99, v109, v106
	v_fmac_f16_e32 v101, 0xbbad, v45
	v_fma_f16 v106, v53, 0xb08e, -v113
	v_add_f16_e32 v90, v104, v90
	v_mul_f16_e32 v104, 0xbb47, v48
	v_add_f16_e32 v96, v98, v96
	v_fma_f16 v98, v63, 0xb93d, -v102
	v_add_f16_e32 v101, v20, v101
	v_fmac_f16_e32 v107, 0x3abb, v46
	v_add_f16_e32 v99, v106, v99
	v_mul_f16_e32 v106, 0xba0c, v47
	v_sub_f16_e32 v68, v68, v104
	v_add_f16_e32 v96, v98, v96
	v_fma_f16 v98, v65, 0x36a6, -v105
	v_mul_f16_e32 v102, 0x36a6, v45
	v_add_f16_e32 v101, v107, v101
	v_mul_f16_e32 v107, 0x3482, v50
	v_add_f16_e32 v68, v38, v68
	v_sub_f16_e32 v71, v71, v106
	v_add_f16_e32 v96, v98, v96
	v_mul_f16_e32 v98, 0xb93d, v46
	v_fma_f16 v105, v60, 0xb08e, -v111
	v_fma_f16 v86, v61, 0xb93d, -v86
	v_mul_f16_e32 v109, 0x3beb, v52
	v_add_f16_e32 v64, v102, v64
	v_add_f16_e32 v68, v71, v68
	v_sub_f16_e32 v71, v72, v107
	v_add_f16_e32 v96, v105, v96
	v_mul_f16_e32 v105, 0xbbad, v49
	v_add_f16_e32 v86, v38, v86
	v_fma_f16 v87, v62, 0xb08e, -v87
	v_fma_f16 v75, v61, 0xb08e, -v75
	v_add_f16_e32 v64, v20, v64
	v_add_f16_e32 v66, v98, v66
	;; [unrolled: 1-line block ×3, first 2 shown]
	v_sub_f16_e32 v71, v74, v109
	v_mul_f16_e32 v61, 0x3abb, v61
	v_add_f16_e32 v86, v87, v86
	v_mul_f16_e32 v87, 0xb08e, v51
	v_add_f16_e32 v75, v38, v75
	v_fma_f16 v76, v62, 0xbbad, -v76
	v_add_f16_e32 v64, v66, v64
	v_add_f16_e32 v66, v105, v67
	;; [unrolled: 1-line block ×3, first 2 shown]
	v_fmamk_f16 v68, v48, 0x3853, v61
	v_mul_f16_e32 v62, 0x36a6, v62
	v_fma_f16 v84, v63, 0x3abb, -v84
	v_add_f16_e32 v75, v76, v75
	v_fma_f16 v76, v63, 0x36a6, -v77
	v_add_f16_e32 v64, v66, v64
	v_add_f16_e32 v66, v87, v70
	;; [unrolled: 1-line block ×3, first 2 shown]
	v_fmamk_f16 v70, v47, 0x3b47, v62
	v_mul_f16_e32 v63, 0xb08e, v63
	v_add_f16_e32 v21, v21, v20
	v_add_f16_e32 v64, v66, v64
	v_mul_f16_e32 v57, 0xb853, v57
	v_add_f16_e32 v66, v70, v68
	v_fmamk_f16 v68, v50, 0x3beb, v63
	v_add_f16_e32 v21, v24, v21
	v_add_f16_e32 v24, v40, v38
	v_mul_f16_e32 v55, 0xbb47, v55
	v_mul_f16_e32 v56, 0xbbeb, v56
	v_add_f16_e32 v66, v68, v66
	v_fmamk_f16 v68, v45, 0x3abb, v57
	v_add_f16_e32 v19, v19, v21
	v_add_f16_e32 v21, v39, v24
	v_fmac_f16_e32 v81, 0xb08e, v45
	v_fmac_f16_e32 v95, 0xb93d, v45
	v_add_f16_e32 v40, v20, v68
	v_fmamk_f16 v68, v46, 0x36a6, v55
	v_add_f16_e32 v19, v22, v19
	v_add_f16_e32 v21, v35, v21
	v_mul_f16_e32 v22, 0xba0c, v58
	v_fmac_f16_e32 v61, 0xb853, v48
	v_add_f16_e32 v39, v68, v40
	v_fmamk_f16 v40, v49, 0xb08e, v56
	v_add_f16_e32 v19, v23, v19
	v_add_f16_e32 v21, v37, v21
	v_fmamk_f16 v23, v51, 0xb93d, v22
	v_mul_f16_e32 v37, 0xb482, v59
	v_add_f16_e32 v39, v40, v39
	v_add_f16_e32 v19, v26, v19
	;; [unrolled: 1-line block ×3, first 2 shown]
	v_fma_f16 v91, v65, 0xbbad, -v91
	v_fmamk_f16 v26, v53, 0xbbad, v37
	v_add_f16_e32 v23, v23, v39
	v_add_f16_e32 v19, v27, v19
	;; [unrolled: 1-line block ×4, first 2 shown]
	v_fma_f16 v76, v65, 0x3abb, -v78
	v_add_f16_e32 v23, v26, v23
	v_fma_f16 v26, v45, 0x3abb, -v57
	v_add_f16_e32 v78, v20, v81
	v_fmac_f16_e32 v82, 0xbbad, v46
	v_mul_f16_e32 v65, 0xb93d, v65
	v_add_f16_e32 v17, v17, v19
	v_add_f16_e32 v19, v42, v21
	;; [unrolled: 1-line block ×3, first 2 shown]
	v_fmac_f16_e32 v97, 0xb08e, v46
	v_add_f16_e32 v21, v38, v61
	v_fmac_f16_e32 v62, 0xbb47, v47
	v_add_f16_e32 v20, v20, v26
	v_fma_f16 v26, v46, 0x36a6, -v55
	v_add_f16_e32 v78, v82, v78
	v_fmac_f16_e32 v83, 0x36a6, v49
	v_fmamk_f16 v70, v52, 0x3a0c, v65
	v_mul_f16_e32 v35, 0xbbad, v60
	v_add_f16_e32 v17, v18, v17
	v_add_f16_e32 v18, v34, v19
	v_fmac_f16_e32 v110, 0xb93d, v49
	v_add_f16_e32 v95, v97, v95
	v_fmac_f16_e32 v100, 0x3abb, v49
	;; [unrolled: 2-line block ×3, first 2 shown]
	v_add_f16_e32 v20, v26, v20
	v_fma_f16 v21, v49, 0xb08e, -v56
	v_add_f16_e32 v84, v84, v86
	v_mul_f16_e32 v86, 0x3abb, v53
	v_mul_f16_e32 v97, 0x3853, v54
	v_add_f16_e32 v72, v83, v78
	v_fmac_f16_e32 v85, 0x3abb, v51
	v_add_f16_e32 v24, v70, v66
	v_fmamk_f16 v40, v54, 0x3482, v35
	v_add_f16_e32 v18, v41, v18
	v_add_f16_e32 v101, v110, v101
	v_fmac_f16_e32 v112, 0x36a6, v51
	v_add_f16_e32 v95, v100, v95
	v_fmac_f16_e32 v103, 0xbbad, v51
	;; [unrolled: 2-line block ×3, first 2 shown]
	v_add_f16_e32 v20, v21, v20
	v_fma_f16 v21, v51, 0xb93d, -v22
	v_add_f16_e32 v75, v76, v75
	v_fma_f16 v76, v60, 0xb93d, -v79
	v_add_f16_e32 v72, v85, v72
	v_sub_f16_e32 v71, v73, v97
	v_fmac_f16_e32 v93, 0xb93d, v53
	v_add_f16_e32 v69, v86, v69
	v_add_f16_e32 v24, v40, v24
	;; [unrolled: 1-line block ×4, first 2 shown]
	v_mov_b32_e32 v22, 2
	v_add_f16_e32 v101, v112, v101
	v_fmac_f16_e32 v113, 0xb08e, v53
	v_add_f16_e32 v84, v91, v84
	v_fma_f16 v91, v60, 0x36a6, -v94
	v_add_f16_e32 v77, v103, v95
	v_fmac_f16_e32 v108, 0x36a6, v53
	v_add_f16_e32 v19, v65, v19
	v_fmac_f16_e32 v35, 0xb482, v54
	v_add_f16_e32 v20, v21, v20
	v_fma_f16 v21, v53, 0xbbad, -v37
	v_add_f16_e32 v75, v76, v75
	v_add_f16_e32 v67, v71, v67
	v_lshlrev_b32_sdwa v22, v22, v30 dst_sel:DWORD dst_unused:UNUSED_PAD src0_sel:DWORD src1_sel:WORD_0
	v_pack_b32_f16 v23, v23, v24
	v_pack_b32_f16 v17, v17, v18
	v_add_f16_e32 v18, v69, v64
	v_add_f16_e32 v24, v93, v72
	;; [unrolled: 1-line block ×7, first 2 shown]
	ds_write2_b32 v22, v17, v23 offset1:1
	v_pack_b32_f16 v17, v18, v67
	v_pack_b32_f16 v18, v24, v75
	;; [unrolled: 1-line block ×7, first 2 shown]
	v_perm_b32 v30, v36, v25, 0x5040100
	v_pack_b32_f16 v19, v20, v19
	ds_write2_b32 v22, v17, v18 offset0:2 offset1:3
	ds_write2_b32 v22, v23, v21 offset0:4 offset1:5
	;; [unrolled: 1-line block ×4, first 2 shown]
	ds_write_b32 v22, v19 offset:40
.LBB0_17:
	s_or_b32 exec_lo, exec_lo, s1
	s_waitcnt lgkmcnt(0)
	s_barrier
	buffer_gl0_inv
	ds_read2_b32 v[19:20], v28 offset1:55
	ds_read2_b32 v[21:22], v28 offset0:110 offset1:165
	v_add_nc_u32_e32 v17, 0x200, v28
	v_add_nc_u32_e32 v26, 0x400, v28
	ds_read_b32 v18, v28 offset:1760
	ds_read2_b32 v[23:24], v17 offset0:92 offset1:147
	ds_read2_b32 v[26:27], v26 offset0:74 offset1:129
	s_waitcnt lgkmcnt(0)
	s_barrier
	buffer_gl0_inv
	v_lshrrev_b32_e32 v31, 16, v20
	v_lshrrev_b32_e32 v32, 16, v21
	v_lshrrev_b32_e32 v34, 16, v22
	v_mul_f16_sdwa v37, v8, v20 dst_sel:DWORD dst_unused:UNUSED_PAD src0_sel:WORD_1 src1_sel:DWORD
	v_mul_f16_sdwa v38, v9, v21 dst_sel:DWORD dst_unused:UNUSED_PAD src0_sel:WORD_1 src1_sel:DWORD
	v_mul_f16_sdwa v39, v10, v22 dst_sel:DWORD dst_unused:UNUSED_PAD src0_sel:WORD_1 src1_sel:DWORD
	v_lshrrev_b32_e32 v40, 16, v23
	v_lshrrev_b32_e32 v41, 16, v24
	v_mul_f16_sdwa v44, v8, v31 dst_sel:DWORD dst_unused:UNUSED_PAD src0_sel:WORD_1 src1_sel:DWORD
	v_fma_f16 v31, v8, v31, -v37
	v_mul_f16_sdwa v37, v9, v32 dst_sel:DWORD dst_unused:UNUSED_PAD src0_sel:WORD_1 src1_sel:DWORD
	v_mul_f16_sdwa v45, v10, v34 dst_sel:DWORD dst_unused:UNUSED_PAD src0_sel:WORD_1 src1_sel:DWORD
	v_lshrrev_b32_e32 v35, 16, v18
	v_fma_f16 v32, v9, v32, -v38
	v_fma_f16 v34, v10, v34, -v39
	v_fmac_f16_e32 v44, v8, v20
	v_fmac_f16_e32 v37, v9, v21
	;; [unrolled: 1-line block ×3, first 2 shown]
	v_mul_f16_sdwa v8, v11, v40 dst_sel:DWORD dst_unused:UNUSED_PAD src0_sel:WORD_1 src1_sel:DWORD
	v_mul_f16_sdwa v9, v11, v23 dst_sel:DWORD dst_unused:UNUSED_PAD src0_sel:WORD_1 src1_sel:DWORD
	;; [unrolled: 1-line block ×4, first 2 shown]
	v_lshrrev_b32_e32 v42, 16, v26
	v_lshrrev_b32_e32 v43, 16, v27
	v_fmac_f16_e32 v8, v11, v23
	v_fma_f16 v9, v11, v40, -v9
	v_fmac_f16_e32 v10, v4, v24
	v_fma_f16 v4, v4, v41, -v20
	v_mul_f16_sdwa v11, v7, v35 dst_sel:DWORD dst_unused:UNUSED_PAD src0_sel:WORD_1 src1_sel:DWORD
	v_mul_f16_sdwa v20, v7, v18 dst_sel:DWORD dst_unused:UNUSED_PAD src0_sel:WORD_1 src1_sel:DWORD
	;; [unrolled: 1-line block ×6, first 2 shown]
	v_fmac_f16_e32 v11, v7, v18
	v_fma_f16 v7, v7, v35, -v20
	v_fmac_f16_e32 v21, v5, v26
	v_fmac_f16_e32 v22, v6, v27
	v_fma_f16 v5, v5, v42, -v23
	v_fma_f16 v6, v6, v43, -v24
	v_add_f16_e32 v20, v44, v11
	v_add_f16_e32 v23, v31, v7
	v_sub_f16_e32 v31, v31, v7
	v_add_f16_e32 v24, v37, v22
	v_add_f16_e32 v26, v32, v6
	v_sub_f16_e32 v32, v32, v6
	v_fmamk_f16 v7, v20, 0x3a21, v19
	v_mul_f16_e32 v6, 0x3924, v31
	v_sub_f16_e32 v11, v44, v11
	v_add_f16_e32 v27, v45, v21
	v_add_f16_e32 v35, v34, v5
	v_sub_f16_e32 v5, v34, v5
	v_fmac_f16_e32 v6, 0x3be1, v32
	v_fmac_f16_e32 v7, 0x318f, v24
	v_add_f16_e32 v46, v24, v20
	v_add_f16_e32 v47, v26, v23
	v_sub_f16_e32 v22, v37, v22
	v_mul_f16_e32 v18, 0x3924, v11
	v_sub_f16_e32 v37, v8, v10
	v_fmac_f16_e32 v6, 0x3aee, v5
	v_sub_f16_e32 v38, v9, v4
	v_fmac_f16_e32 v7, -0.5, v27
	v_add_f16_e32 v39, v8, v10
	v_add_f16_e32 v49, v27, v46
	;; [unrolled: 1-line block ×3, first 2 shown]
	v_sub_f16_e32 v21, v45, v21
	v_fmac_f16_e32 v18, 0x3be1, v22
	v_add_f16_e32 v40, v9, v4
	v_fmac_f16_e32 v6, 0x3579, v38
	v_mul_f16_e32 v41, 0xb924, v38
	v_fmac_f16_e32 v7, 0xbb84, v39
	v_fmamk_f16 v42, v39, 0x3a21, v19
	v_mul_f16_e32 v43, 0xb924, v37
	v_add_f16_e32 v8, v8, v49
	v_add_f16_e32 v9, v9, v50
	v_lshrrev_b32_e32 v30, 16, v19
	v_fmac_f16_e32 v18, 0x3aee, v21
	v_fmac_f16_e32 v41, 0x3be1, v31
	;; [unrolled: 1-line block ×3, first 2 shown]
	v_sub_f16_e32 v45, v7, v6
	v_fmac_f16_e32 v43, 0x3be1, v11
	v_add_f16_e32 v8, v10, v8
	v_add_f16_e32 v4, v4, v9
	v_fmamk_f16 v34, v23, 0x3a21, v30
	v_fmac_f16_e32 v18, 0x3579, v37
	v_fmamk_f16 v44, v40, 0x3a21, v30
	v_fmac_f16_e32 v41, 0xbaee, v5
	v_fmac_f16_e32 v42, -0.5, v27
	v_fmac_f16_e32 v43, 0xbaee, v21
	v_fma_f16 v7, 2.0, v6, v45
	v_add_f16_e32 v6, v37, v11
	v_add_f16_e32 v48, v38, v31
	v_add_f16_e32 v49, v27, v19
	v_add_f16_e32 v50, v35, v30
	v_mul_f16_e32 v10, 0x3be1, v37
	v_mul_f16_e32 v37, 0x3be1, v38
	v_add_f16_e32 v8, v8, v19
	v_add_f16_e32 v38, v4, v30
	v_fmac_f16_e32 v19, 0x3a21, v24
	v_fmac_f16_e32 v30, 0x3a21, v26
	;; [unrolled: 1-line block ×5, first 2 shown]
	v_sub_f16_e32 v51, v6, v22
	v_fma_f16 v10, v22, 0xb924, -v10
	v_fma_f16 v22, v32, 0xb924, -v37
	v_fmac_f16_e32 v19, 0x318f, v39
	v_fmac_f16_e32 v30, 0x318f, v40
	;; [unrolled: 1-line block ×4, first 2 shown]
	v_sub_f16_e32 v42, v42, v41
	v_add_f16_e32 v9, v39, v46
	v_fmac_f16_e32 v10, 0x3aee, v21
	v_fmac_f16_e32 v22, 0x3aee, v5
	v_fmac_f16_e32 v19, -0.5, v27
	v_fmac_f16_e32 v30, -0.5, v35
	;; [unrolled: 1-line block ×3, first 2 shown]
	v_add_f16_e32 v4, v40, v47
	v_fmac_f16_e32 v34, -0.5, v35
	v_fma_f16 v6, 2.0, v41, v42
	v_sub_f16_e32 v41, v48, v32
	v_fmac_f16_e32 v49, -0.5, v9
	v_fmac_f16_e32 v10, 0x3579, v11
	v_fmac_f16_e32 v22, 0x3579, v31
	;; [unrolled: 1-line block ×5, first 2 shown]
	v_fmac_f16_e32 v50, -0.5, v4
	v_fmac_f16_e32 v34, 0xbb84, v40
	v_mul_f16_e32 v4, 0x3aee, v41
	v_fmac_f16_e32 v49, 0xbaee, v41
	v_sub_f16_e32 v9, v19, v22
	v_add_f16_e32 v11, v10, v30
	v_add_f16_e32 v44, v43, v44
	v_mul_f16_e32 v48, 0x3aee, v51
	v_fmac_f16_e32 v50, 0x3aee, v51
	v_add_f16_e32 v34, v18, v34
	v_fma_f16 v5, 2.0, v4, v49
	v_fma_f16 v4, 2.0, v22, v9
	v_fma_f16 v19, -2.0, v10, v11
	v_fma_f16 v21, -2.0, v43, v44
	;; [unrolled: 1-line block ×4, first 2 shown]
	v_pack_b32_f16 v8, v8, v38
	v_pack_b32_f16 v10, v45, v34
	;; [unrolled: 1-line block ×9, first 2 shown]
	ds_write2_b32 v33, v8, v10 offset1:11
	ds_write2_b32 v33, v22, v23 offset0:22 offset1:33
	ds_write2_b32 v33, v9, v11 offset0:44 offset1:55
	;; [unrolled: 1-line block ×3, first 2 shown]
	ds_write_b32 v33, v27 offset:352
	s_waitcnt lgkmcnt(0)
	s_barrier
	buffer_gl0_inv
	ds_read2_b32 v[8:9], v28 offset1:99
	ds_read2_b32 v[10:11], v17 offset0:70 offset1:169
	ds_read_b32 v22, v28 offset:1584
	s_and_saveexec_b32 s1, s0
	s_cbranch_execz .LBB0_19
; %bb.18:
	ds_read2_b32 v[4:5], v28 offset0:55 offset1:154
	ds_read2_b32 v[6:7], v17 offset0:125 offset1:224
	ds_read_b32 v25, v28 offset:1804
	s_waitcnt lgkmcnt(2)
	v_lshrrev_b32_e32 v19, 16, v4
	v_lshrrev_b32_e32 v20, 16, v5
	s_waitcnt lgkmcnt(1)
	v_lshrrev_b32_e32 v21, 16, v6
	v_lshrrev_b32_e32 v18, 16, v7
	s_waitcnt lgkmcnt(0)
	v_lshrrev_b32_e32 v36, 16, v25
.LBB0_19:
	s_or_b32 exec_lo, exec_lo, s1
	s_waitcnt lgkmcnt(1)
	v_lshrrev_b32_e32 v23, 16, v10
	v_lshrrev_b32_e32 v24, 16, v11
	;; [unrolled: 1-line block ×3, first 2 shown]
	s_waitcnt lgkmcnt(0)
	v_lshrrev_b32_e32 v27, 16, v22
	v_mul_f16_sdwa v32, v12, v9 dst_sel:DWORD dst_unused:UNUSED_PAD src0_sel:WORD_1 src1_sel:DWORD
	v_mul_f16_sdwa v30, v13, v23 dst_sel:DWORD dst_unused:UNUSED_PAD src0_sel:WORD_1 src1_sel:DWORD
	;; [unrolled: 1-line block ×5, first 2 shown]
	v_fma_f16 v26, v12, v26, -v32
	v_fmac_f16_e32 v30, v13, v10
	v_fmac_f16_e32 v31, v14, v11
	v_mul_f16_sdwa v10, v15, v22 dst_sel:DWORD dst_unused:UNUSED_PAD src0_sel:WORD_1 src1_sel:DWORD
	v_fmac_f16_e32 v34, v12, v9
	v_mul_f16_sdwa v12, v15, v27 dst_sel:DWORD dst_unused:UNUSED_PAD src0_sel:WORD_1 src1_sel:DWORD
	v_mul_f16_sdwa v11, v14, v11 dst_sel:DWORD dst_unused:UNUSED_PAD src0_sel:WORD_1 src1_sel:DWORD
	v_add_f16_e32 v9, v30, v31
	v_fma_f16 v10, v15, v27, -v10
	v_fma_f16 v13, v13, v23, -v33
	v_add_f16_e32 v23, v8, v34
	v_fmac_f16_e32 v12, v15, v22
	v_fma_f16 v9, -0.5, v9, v8
	v_sub_f16_e32 v27, v26, v10
	v_fma_f16 v11, v14, v24, -v11
	v_add_f16_e32 v15, v23, v30
	v_add_f16_e32 v23, v34, v12
	v_sub_f16_e32 v32, v34, v30
	v_fmamk_f16 v22, v27, 0xbb9c, v9
	v_sub_f16_e32 v24, v13, v11
	v_sub_f16_e32 v33, v12, v31
	v_fmac_f16_e32 v9, 0x3b9c, v27
	v_lshrrev_b32_e32 v14, 16, v8
	v_fmac_f16_e32 v8, -0.5, v23
	v_fmac_f16_e32 v22, 0xb8b4, v24
	v_add_f16_e32 v23, v32, v33
	v_fmac_f16_e32 v9, 0x38b4, v24
	v_add_f16_e32 v15, v15, v31
	v_fmamk_f16 v32, v24, 0x3b9c, v8
	v_fmac_f16_e32 v8, 0xbb9c, v24
	v_fmac_f16_e32 v22, 0x34f2, v23
	;; [unrolled: 1-line block ×3, first 2 shown]
	v_add_f16_e32 v23, v13, v11
	v_fmac_f16_e32 v32, 0xb8b4, v27
	v_sub_f16_e32 v33, v30, v34
	v_sub_f16_e32 v35, v31, v12
	v_add_f16_e32 v24, v14, v26
	v_fmac_f16_e32 v8, 0x38b4, v27
	v_add_f16_e32 v27, v26, v10
	v_add_f16_e32 v15, v15, v12
	v_fma_f16 v23, -0.5, v23, v14
	v_sub_f16_e32 v12, v34, v12
	v_add_f16_e32 v33, v33, v35
	v_add_f16_e32 v24, v24, v13
	v_sub_f16_e32 v30, v30, v31
	v_fmac_f16_e32 v14, -0.5, v27
	v_fmamk_f16 v34, v12, 0x3b9c, v23
	v_sub_f16_e32 v27, v26, v13
	v_sub_f16_e32 v31, v10, v11
	v_fmac_f16_e32 v32, 0x34f2, v33
	v_fmac_f16_e32 v8, 0x34f2, v33
	v_add_f16_e32 v24, v24, v11
	v_fmamk_f16 v33, v30, 0xbb9c, v14
	v_sub_f16_e32 v13, v13, v26
	v_sub_f16_e32 v11, v11, v10
	v_fmac_f16_e32 v14, 0x3b9c, v30
	v_fmac_f16_e32 v23, 0xbb9c, v12
	;; [unrolled: 1-line block ×3, first 2 shown]
	v_add_f16_e32 v26, v27, v31
	v_fmac_f16_e32 v33, 0x38b4, v12
	v_add_f16_e32 v11, v13, v11
	v_fmac_f16_e32 v14, 0xb8b4, v12
	v_fmac_f16_e32 v23, 0xb8b4, v30
	v_add_f16_e32 v10, v24, v10
	v_fmac_f16_e32 v34, 0x34f2, v26
	v_fmac_f16_e32 v33, 0x34f2, v11
	v_fmac_f16_e32 v14, 0x34f2, v11
	v_fmac_f16_e32 v23, 0x34f2, v26
	v_pack_b32_f16 v10, v15, v10
	v_pack_b32_f16 v11, v22, v34
	;; [unrolled: 1-line block ×5, first 2 shown]
	ds_write2_b32 v28, v10, v11 offset1:99
	ds_write2_b32 v17, v12, v8 offset0:70 offset1:169
	ds_write_b32 v28, v9 offset:1584
	s_and_saveexec_b32 s1, s0
	s_cbranch_execz .LBB0_21
; %bb.20:
	v_mul_f16_sdwa v9, v0, v5 dst_sel:DWORD dst_unused:UNUSED_PAD src0_sel:WORD_1 src1_sel:DWORD
	v_mul_f16_sdwa v10, v3, v25 dst_sel:DWORD dst_unused:UNUSED_PAD src0_sel:WORD_1 src1_sel:DWORD
	v_mul_f16_sdwa v8, v1, v6 dst_sel:DWORD dst_unused:UNUSED_PAD src0_sel:WORD_1 src1_sel:DWORD
	v_mul_f16_sdwa v11, v1, v21 dst_sel:DWORD dst_unused:UNUSED_PAD src0_sel:WORD_1 src1_sel:DWORD
	v_mul_f16_sdwa v12, v2, v18 dst_sel:DWORD dst_unused:UNUSED_PAD src0_sel:WORD_1 src1_sel:DWORD
	v_fma_f16 v9, v0, v20, -v9
	v_fma_f16 v10, v3, v36, -v10
	;; [unrolled: 1-line block ×3, first 2 shown]
	v_mul_f16_sdwa v13, v2, v7 dst_sel:DWORD dst_unused:UNUSED_PAD src0_sel:WORD_1 src1_sel:DWORD
	v_fmac_f16_e32 v11, v1, v6
	v_fmac_f16_e32 v12, v2, v7
	v_mul_f16_sdwa v1, v0, v20 dst_sel:DWORD dst_unused:UNUSED_PAD src0_sel:WORD_1 src1_sel:DWORD
	v_mul_f16_sdwa v6, v3, v36 dst_sel:DWORD dst_unused:UNUSED_PAD src0_sel:WORD_1 src1_sel:DWORD
	v_add_f16_e32 v7, v10, v9
	v_fma_f16 v2, v2, v18, -v13
	v_sub_f16_e32 v13, v11, v12
	v_fmac_f16_e32 v1, v0, v5
	v_fmac_f16_e32 v6, v3, v25
	v_fma_f16 v0, -0.5, v7, v19
	v_sub_f16_e32 v3, v8, v9
	v_sub_f16_e32 v5, v2, v10
	;; [unrolled: 1-line block ×4, first 2 shown]
	v_fmamk_f16 v14, v13, 0x3b9c, v0
	v_sub_f16_e32 v18, v12, v6
	v_add_f16_e32 v22, v2, v8
	v_fmac_f16_e32 v0, 0xbb9c, v13
	v_add_f16_e32 v3, v5, v3
	v_fmac_f16_e32 v14, 0xb8b4, v15
	v_add_f16_e32 v17, v18, v17
	v_fma_f16 v18, -0.5, v22, v19
	v_fmac_f16_e32 v0, 0x38b4, v15
	v_sub_f16_e32 v22, v9, v8
	v_sub_f16_e32 v23, v10, v2
	v_add_f16_e32 v7, v6, v1
	v_fmac_f16_e32 v14, 0x34f2, v3
	v_fmac_f16_e32 v0, 0x34f2, v3
	v_sub_f16_e32 v20, v9, v10
	v_add_f16_e32 v3, v23, v22
	v_add_f16_e32 v22, v12, v11
	v_fma_f16 v5, -0.5, v7, v4
	v_add_f16_e32 v9, v9, v19
	v_sub_f16_e32 v19, v1, v11
	v_add_f16_e32 v1, v4, v1
	v_fma_f16 v4, -0.5, v22, v4
	v_sub_f16_e32 v7, v8, v2
	v_fmamk_f16 v24, v15, 0x3b9c, v18
	v_sub_f16_e32 v23, v6, v12
	v_add_f16_e32 v8, v8, v9
	v_add_f16_e32 v1, v11, v1
	v_fmamk_f16 v11, v20, 0xbb9c, v4
	v_fmamk_f16 v21, v7, 0xbb9c, v5
	v_fmac_f16_e32 v5, 0x3b9c, v7
	v_fmac_f16_e32 v18, 0xbb9c, v15
	;; [unrolled: 1-line block ×4, first 2 shown]
	v_add_f16_e32 v9, v23, v19
	v_add_f16_e32 v2, v2, v8
	;; [unrolled: 1-line block ×3, first 2 shown]
	v_fmac_f16_e32 v11, 0xb8b4, v7
	v_fmac_f16_e32 v21, 0x38b4, v20
	;; [unrolled: 1-line block ×6, first 2 shown]
	v_add_f16_e32 v2, v10, v2
	v_add_f16_e32 v1, v6, v1
	v_fmac_f16_e32 v11, 0x34f2, v9
	v_fmac_f16_e32 v21, 0x34f2, v17
	;; [unrolled: 1-line block ×5, first 2 shown]
	v_pack_b32_f16 v1, v1, v2
	v_pack_b32_f16 v2, v11, v24
	v_pack_b32_f16 v0, v5, v0
	v_pack_b32_f16 v3, v21, v14
	v_add_nc_u32_e32 v5, 0x200, v28
	v_pack_b32_f16 v4, v4, v18
	ds_write2_b32 v28, v1, v2 offset0:55 offset1:154
	ds_write2_b32 v5, v0, v3 offset0:125 offset1:224
	ds_write_b32 v28, v4 offset:1804
.LBB0_21:
	s_or_b32 exec_lo, exec_lo, s1
	s_waitcnt lgkmcnt(0)
	s_barrier
	buffer_gl0_inv
	s_and_b32 exec_lo, exec_lo, vcc_lo
	s_cbranch_execz .LBB0_23
; %bb.22:
	s_clause 0x5
	global_load_dword v2, v28, s[20:21]
	global_load_dword v3, v28, s[20:21] offset:180
	global_load_dword v4, v28, s[20:21] offset:360
	;; [unrolled: 1-line block ×5, first 2 shown]
	v_mad_u64_u32 v[10:11], null, s6, v16, 0
	v_mad_u64_u32 v[12:13], null, s4, v29, 0
	v_add_nc_u32_e32 v1, 0x200, v28
	ds_read_b32 v24, v28
	global_load_dword v6, v28, s[20:21] offset:1080
	ds_read2_b32 v[14:15], v28 offset0:45 offset1:90
	v_mov_b32_e32 v0, v11
	ds_read2_b32 v[17:18], v28 offset0:135 offset1:180
	v_mov_b32_e32 v7, v13
	s_mov_b32 s22, 0xb37565e2
	s_mov_b32 s23, 0x3f608cab
	v_mad_u64_u32 v[19:20], null, s7, v16, v[0:1]
	v_mad_u64_u32 v[20:21], null, s5, v29, v[7:8]
	ds_read2_b32 v[0:1], v1 offset0:97 offset1:142
	s_mul_i32 s0, s5, 0xb4
	s_mul_hi_u32 s24, s4, 0xb4
	s_mul_i32 s19, s4, 0xb4
	v_mov_b32_e32 v11, v19
	s_add_i32 s24, s24, s0
	v_mov_b32_e32 v13, v20
	s_clause 0x2
	global_load_dword v7, v28, s[20:21] offset:1260
	global_load_dword v9, v28, s[20:21] offset:1440
	;; [unrolled: 1-line block ×3, first 2 shown]
	s_waitcnt lgkmcnt(3)
	v_lshrrev_b32_e32 v16, 16, v24
	v_lshlrev_b64 v[10:11], 2, v[10:11]
	s_waitcnt lgkmcnt(2)
	v_lshrrev_b32_e32 v19, 16, v14
	v_lshlrev_b64 v[12:13], 2, v[12:13]
	v_lshrrev_b32_e32 v20, 16, v15
	s_waitcnt lgkmcnt(1)
	v_lshrrev_b32_e32 v21, 16, v17
	v_lshrrev_b32_e32 v25, 16, v18
	v_add_co_u32 v10, vcc_lo, s8, v10
	v_add_co_ci_u32_e32 v11, vcc_lo, s9, v11, vcc_lo
	v_add_co_u32 v10, vcc_lo, v10, v12
	v_add_co_ci_u32_e32 v11, vcc_lo, v11, v13, vcc_lo
	s_waitcnt lgkmcnt(0)
	v_lshrrev_b32_e32 v26, 16, v0
	s_waitcnt vmcnt(9)
	v_mul_f16_sdwa v12, v16, v2 dst_sel:DWORD dst_unused:UNUSED_PAD src0_sel:DWORD src1_sel:WORD_1
	v_mul_f16_sdwa v13, v24, v2 dst_sel:DWORD dst_unused:UNUSED_PAD src0_sel:DWORD src1_sel:WORD_1
	s_waitcnt vmcnt(8)
	v_mul_f16_sdwa v27, v19, v3 dst_sel:DWORD dst_unused:UNUSED_PAD src0_sel:DWORD src1_sel:WORD_1
	v_mul_f16_sdwa v29, v14, v3 dst_sel:DWORD dst_unused:UNUSED_PAD src0_sel:DWORD src1_sel:WORD_1
	s_waitcnt vmcnt(7)
	v_mul_f16_sdwa v30, v20, v4 dst_sel:DWORD dst_unused:UNUSED_PAD src0_sel:DWORD src1_sel:WORD_1
	v_fmac_f16_e32 v12, v24, v2
	v_mul_f16_sdwa v31, v15, v4 dst_sel:DWORD dst_unused:UNUSED_PAD src0_sel:DWORD src1_sel:WORD_1
	s_waitcnt vmcnt(6)
	v_mul_f16_sdwa v32, v21, v5 dst_sel:DWORD dst_unused:UNUSED_PAD src0_sel:DWORD src1_sel:WORD_1
	v_mul_f16_sdwa v33, v17, v5 dst_sel:DWORD dst_unused:UNUSED_PAD src0_sel:DWORD src1_sel:WORD_1
	v_fma_f16 v2, v2, v16, -v13
	v_fmac_f16_e32 v27, v14, v3
	v_fma_f16 v13, v3, v19, -v29
	v_cvt_f32_f16_e32 v3, v12
	s_waitcnt vmcnt(5)
	v_mul_f16_sdwa v34, v25, v22 dst_sel:DWORD dst_unused:UNUSED_PAD src0_sel:DWORD src1_sel:WORD_1
	v_mul_f16_sdwa v35, v18, v22 dst_sel:DWORD dst_unused:UNUSED_PAD src0_sel:DWORD src1_sel:WORD_1
	v_fmac_f16_e32 v30, v15, v4
	v_fma_f16 v4, v4, v20, -v31
	v_fmac_f16_e32 v32, v17, v5
	v_fma_f16 v14, v5, v21, -v33
	v_cvt_f32_f16_e32 v5, v2
	v_cvt_f64_f32_e32 v[2:3], v3
	s_waitcnt vmcnt(4)
	v_mul_f16_sdwa v36, v26, v23 dst_sel:DWORD dst_unused:UNUSED_PAD src0_sel:DWORD src1_sel:WORD_1
	v_mul_f16_sdwa v37, v0, v23 dst_sel:DWORD dst_unused:UNUSED_PAD src0_sel:DWORD src1_sel:WORD_1
	v_fmac_f16_e32 v34, v18, v22
	v_fma_f16 v12, v22, v25, -v35
	v_cvt_f32_f16_e32 v15, v27
	v_cvt_f32_f16_e32 v18, v4
	v_cvt_f64_f32_e32 v[4:5], v5
	v_fmac_f16_e32 v36, v0, v23
	v_fma_f16 v0, v23, v26, -v37
	v_cvt_f32_f16_e32 v16, v13
	v_cvt_f32_f16_e32 v26, v12
	v_cvt_f64_f32_e32 v[12:13], v15
	v_cvt_f32_f16_e32 v17, v30
	v_cvt_f32_f16_e32 v22, v14
	v_cvt_f64_f32_e32 v[14:15], v16
	;; [unrolled: 3-line block ×3, first 2 shown]
	v_cvt_f32_f16_e32 v20, v32
	v_cvt_f64_f32_e32 v[18:19], v18
	v_cvt_f64_f32_e32 v[22:23], v22
	v_mul_f64 v[33:34], v[2:3], s[22:23]
	v_cvt_f64_f32_e32 v[31:32], v0
	v_cvt_f64_f32_e32 v[20:21], v20
	v_add_co_u32 v35, vcc_lo, v10, s19
	v_cvt_f32_f16_e32 v29, v36
	v_add_co_ci_u32_e32 v36, vcc_lo, s24, v11, vcc_lo
	v_mul_f64 v[37:38], v[4:5], s[22:23]
	v_cvt_f64_f32_e32 v[24:25], v24
	v_add_co_u32 v39, vcc_lo, v35, s19
	v_mul_f64 v[12:13], v[12:13], s[22:23]
	v_add_co_ci_u32_e32 v40, vcc_lo, s24, v36, vcc_lo
	v_mul_f64 v[14:15], v[14:15], s[22:23]
	v_cvt_f64_f32_e32 v[26:27], v26
	v_add_co_u32 v41, vcc_lo, v39, s19
	v_mul_f64 v[16:17], v[16:17], s[22:23]
	v_mul_f64 v[18:19], v[18:19], s[22:23]
	v_add_co_ci_u32_e32 v42, vcc_lo, s24, v40, vcc_lo
	v_and_or_b32 v0, 0x1ff, v34, v33
	v_mul_f64 v[2:3], v[31:32], s[22:23]
	v_cvt_f64_f32_e32 v[29:30], v29
	v_mul_f64 v[20:21], v[20:21], s[22:23]
	v_mul_f64 v[22:23], v[22:23], s[22:23]
	v_cmp_ne_u32_e32 vcc_lo, 0, v0
	v_lshrrev_b32_e32 v31, 16, v34
	v_and_or_b32 v32, 0x1ff, v38, v37
	v_mul_f64 v[24:25], v[24:25], s[22:23]
	v_lshrrev_b32_e32 v33, 8, v38
	v_cndmask_b32_e64 v0, 0, 1, vcc_lo
	v_and_or_b32 v12, 0x1ff, v13, v12
	v_cmp_ne_u32_e32 vcc_lo, 0, v32
	v_lshrrev_b32_e32 v37, 16, v38
	v_and_or_b32 v14, 0x1ff, v15, v14
	v_mul_f64 v[26:27], v[26:27], s[22:23]
	v_bfe_u32 v43, v13, 20, 11
	v_cndmask_b32_e64 v32, 0, 1, vcc_lo
	v_cmp_ne_u32_e32 vcc_lo, 0, v12
	v_and_or_b32 v16, 0x1ff, v17, v16
	v_and_or_b32 v18, 0x1ff, v19, v18
	v_lshrrev_b32_e32 v44, 8, v15
	v_and_or_b32 v32, 0xffe, v33, v32
	v_cndmask_b32_e64 v12, 0, 1, vcc_lo
	v_cmp_ne_u32_e32 vcc_lo, 0, v14
	v_mul_f64 v[4:5], v[29:30], s[22:23]
	v_and_or_b32 v20, 0x1ff, v21, v20
	v_and_or_b32 v22, 0x1ff, v23, v22
	v_lshrrev_b32_e32 v29, 8, v34
	v_cndmask_b32_e64 v14, 0, 1, vcc_lo
	v_cmp_ne_u32_e32 vcc_lo, 0, v16
	v_and_or_b32 v24, 0x1ff, v25, v24
	v_bfe_u32 v30, v34, 20, 11
	v_and_or_b32 v0, 0xffe, v29, v0
	v_bfe_u32 v34, v38, 20, 11
	v_cndmask_b32_e64 v16, 0, 1, vcc_lo
	v_cmp_ne_u32_e32 vcc_lo, 0, v18
	v_and_or_b32 v26, 0x1ff, v27, v26
	v_lshrrev_b32_e32 v38, 8, v13
	v_sub_nc_u32_e32 v60, 0x3f1, v30
	v_add_nc_u32_e32 v30, 0xfffffc10, v30
	v_cndmask_b32_e64 v18, 0, 1, vcc_lo
	v_cmp_ne_u32_e32 vcc_lo, 0, v20
	v_bfe_u32 v45, v15, 20, 11
	v_bfe_u32 v47, v17, 20, 11
	v_sub_nc_u32_e32 v61, 0x3f1, v34
	v_add_nc_u32_e32 v34, 0xfffffc10, v34
	v_cndmask_b32_e64 v20, 0, 1, vcc_lo
	v_cmp_ne_u32_e32 vcc_lo, 0, v22
	v_and_or_b32 v4, 0x1ff, v5, v4
	v_lshrrev_b32_e32 v58, 8, v5
	v_sub_nc_u32_e32 v62, 0x3f1, v43
	v_med3_i32 v29, v60, 0, 13
	v_cndmask_b32_e64 v22, 0, 1, vcc_lo
	v_cmp_ne_u32_e32 vcc_lo, 0, v24
	v_and_or_b32 v12, 0xffe, v38, v12
	v_lshl_or_b32 v60, v30, 12, v0
	v_lshrrev_b32_e32 v46, 8, v17
	v_bfe_u32 v49, v19, 20, 11
	v_cndmask_b32_e64 v24, 0, 1, vcc_lo
	v_cmp_ne_u32_e32 vcc_lo, 0, v26
	v_bfe_u32 v51, v21, 20, 11
	v_add_nc_u32_e32 v43, 0xfffffc10, v43
	v_sub_nc_u32_e32 v63, 0x3f1, v45
	v_sub_nc_u32_e32 v64, 0x3f1, v47
	v_cndmask_b32_e64 v26, 0, 1, vcc_lo
	v_cmp_ne_u32_e32 vcc_lo, 0, v4
	v_med3_i32 v33, v61, 0, 13
	v_med3_i32 v38, v62, 0, 13
	v_and_or_b32 v14, 0xffe, v44, v14
	v_or_b32_e32 v61, 0x1000, v32
	v_cndmask_b32_e64 v4, 0, 1, vcc_lo
	v_cmp_ne_u32_e32 vcc_lo, 0, v0
	v_lshl_or_b32 v62, v34, 12, v32
	v_lshrrev_b32_e32 v48, 8, v19
	v_lshrrev_b32_e32 v50, 8, v21
	v_and_or_b32 v4, 0xffe, v58, v4
	v_or_b32_e32 v58, 0x1000, v0
	v_cndmask_b32_e64 v0, 0, 1, vcc_lo
	v_cmp_ne_u32_e32 vcc_lo, 0, v32
	v_bfe_u32 v53, v23, 20, 11
	v_bfe_u32 v55, v25, 20, 11
	v_add_nc_u32_e32 v45, 0xfffffc10, v45
	v_sub_nc_u32_e32 v65, 0x3f1, v49
	v_cndmask_b32_e64 v32, 0, 1, vcc_lo
	v_cmp_ne_u32_e32 vcc_lo, 0, v12
	v_sub_nc_u32_e32 v66, 0x3f1, v51
	v_med3_i32 v44, v63, 0, 13
	v_and_or_b32 v16, 0xffe, v46, v16
	v_med3_i32 v46, v64, 0, 13
	v_or_b32_e32 v63, 0x1000, v12
	v_lshl_or_b32 v64, v43, 12, v12
	v_cndmask_b32_e64 v12, 0, 1, vcc_lo
	v_cmp_ne_u32_e32 vcc_lo, 0, v14
	v_lshrrev_b32_e32 v52, 8, v23
	v_lshrrev_b32_e32 v54, 8, v25
	v_bfe_u32 v57, v27, 20, 11
	v_add_nc_u32_e32 v47, 0xfffffc10, v47
	v_sub_nc_u32_e32 v67, 0x3f1, v53
	v_sub_nc_u32_e32 v68, 0x3f1, v55
	v_and_or_b32 v18, 0xffe, v48, v18
	v_med3_i32 v48, v65, 0, 13
	v_and_or_b32 v20, 0xffe, v50, v20
	v_med3_i32 v50, v66, 0, 13
	v_or_b32_e32 v65, 0x1000, v14
	v_lshl_or_b32 v66, v45, 12, v14
	v_cndmask_b32_e64 v14, 0, 1, vcc_lo
	v_cmp_ne_u32_e32 vcc_lo, 0, v16
	v_lshrrev_b32_e32 v56, 8, v27
	v_add_nc_u32_e32 v49, 0xfffffc10, v49
	v_sub_nc_u32_e32 v69, 0x3f1, v57
	v_and_or_b32 v22, 0xffe, v52, v22
	v_med3_i32 v52, v67, 0, 13
	v_and_or_b32 v24, 0xffe, v54, v24
	v_med3_i32 v54, v68, 0, 13
	v_or_b32_e32 v67, 0x1000, v16
	v_lshl_or_b32 v68, v47, 12, v16
	v_cndmask_b32_e64 v16, 0, 1, vcc_lo
	v_cmp_ne_u32_e32 vcc_lo, 0, v18
	v_add_nc_u32_e32 v51, 0xfffffc10, v51
	v_and_or_b32 v26, 0xffe, v56, v26
	v_med3_i32 v56, v69, 0, 13
	v_or_b32_e32 v69, 0x1000, v18
	v_lshl_or_b32 v71, v49, 12, v18
	v_cndmask_b32_e64 v18, 0, 1, vcc_lo
	v_cmp_ne_u32_e32 vcc_lo, 0, v20
	v_add_nc_u32_e32 v53, 0xfffffc10, v53
	v_or_b32_e32 v72, 0x1000, v20
	v_lshl_or_b32 v73, v51, 12, v20
	v_lshrrev_b32_e32 v80, v29, v58
	v_cndmask_b32_e64 v20, 0, 1, vcc_lo
	v_cmp_ne_u32_e32 vcc_lo, 0, v22
	v_add_nc_u32_e32 v55, 0xfffffc10, v55
	v_or_b32_e32 v74, 0x1000, v22
	v_lshl_or_b32 v75, v53, 12, v22
	v_lshrrev_b32_e32 v81, v33, v61
	v_cndmask_b32_e64 v22, 0, 1, vcc_lo
	v_cmp_ne_u32_e32 vcc_lo, 0, v24
	v_lshlrev_b32_e32 v29, v29, v80
	v_or_b32_e32 v76, 0x1000, v24
	v_lshl_or_b32 v77, v55, 12, v24
	v_lshrrev_b32_e32 v82, v38, v63
	v_cndmask_b32_e64 v24, 0, 1, vcc_lo
	v_lshlrev_b32_e32 v33, v33, v81
	v_cmp_ne_u32_e32 vcc_lo, v29, v58
	v_lshrrev_b32_e32 v83, v44, v65
	v_lshlrev_b32_e32 v38, v38, v82
	v_lshrrev_b32_e32 v84, v46, v67
	v_lshrrev_b32_e32 v85, v48, v69
	v_cndmask_b32_e64 v29, 0, 1, vcc_lo
	v_cmp_ne_u32_e32 vcc_lo, v33, v61
	v_lshlrev_b32_e32 v44, v44, v83
	v_lshlrev_b32_e32 v46, v46, v84
	v_lshrrev_b32_e32 v86, v50, v72
	v_lshlrev_b32_e32 v48, v48, v85
	v_cndmask_b32_e64 v33, 0, 1, vcc_lo
	v_cmp_ne_u32_e32 vcc_lo, v38, v63
	v_lshrrev_b32_e32 v87, v52, v74
	v_lshlrev_b32_e32 v50, v50, v86
	v_or_b32_e32 v78, 0x1000, v26
	v_lshrrev_b32_e32 v88, v54, v76
	v_cndmask_b32_e64 v38, 0, 1, vcc_lo
	v_cmp_ne_u32_e32 vcc_lo, v44, v65
	v_lshlrev_b32_e32 v52, v52, v87
	v_lshrrev_b32_e32 v89, v56, v78
	v_lshlrev_b32_e32 v54, v54, v88
	v_or_b32_e32 v29, v80, v29
	v_cndmask_b32_e64 v44, 0, 1, vcc_lo
	v_cmp_ne_u32_e32 vcc_lo, v46, v67
	v_lshlrev_b32_e32 v56, v56, v89
	v_or_b32_e32 v33, v81, v33
	v_or_b32_e32 v38, v82, v38
	;; [unrolled: 1-line block ×3, first 2 shown]
	v_cndmask_b32_e64 v46, 0, 1, vcc_lo
	v_cmp_ne_u32_e32 vcc_lo, v48, v69
	v_add_nc_u32_e32 v57, 0xfffffc10, v57
	v_lshl_or_b32 v0, v0, 9, 0x7c00
	v_lshl_or_b32 v32, v32, 9, 0x7c00
	v_or_b32_e32 v46, v84, v46
	v_cndmask_b32_e64 v48, 0, 1, vcc_lo
	v_cmp_ne_u32_e32 vcc_lo, v50, v72
	v_lshl_or_b32 v79, v57, 12, v26
	v_lshl_or_b32 v12, v12, 9, 0x7c00
	;; [unrolled: 1-line block ×3, first 2 shown]
	v_or_b32_e32 v48, v85, v48
	v_cndmask_b32_e64 v50, 0, 1, vcc_lo
	v_cmp_ne_u32_e32 vcc_lo, v52, v74
	v_lshl_or_b32 v16, v16, 9, 0x7c00
	v_lshl_or_b32 v18, v18, 9, 0x7c00
	v_lshrrev_b32_e32 v13, 16, v13
	v_or_b32_e32 v50, v86, v50
	v_cndmask_b32_e64 v52, 0, 1, vcc_lo
	v_cmp_ne_u32_e32 vcc_lo, v54, v76
	v_lshl_or_b32 v20, v20, 9, 0x7c00
	v_lshrrev_b32_e32 v15, 16, v15
	v_lshl_or_b32 v22, v22, 9, 0x7c00
	v_or_b32_e32 v52, v87, v52
	v_cndmask_b32_e64 v54, 0, 1, vcc_lo
	v_cmp_ne_u32_e32 vcc_lo, v56, v78
	v_lshrrev_b32_e32 v17, 16, v17
	v_lshrrev_b32_e32 v21, 16, v21
	v_bfe_u32 v59, v5, 20, 11
	v_or_b32_e32 v54, v88, v54
	v_cndmask_b32_e64 v56, 0, 1, vcc_lo
	v_cmp_gt_i32_e32 vcc_lo, 1, v30
	v_lshl_or_b32 v24, v24, 9, 0x7c00
	v_lshrrev_b32_e32 v19, 16, v19
	v_lshrrev_b32_e32 v23, 16, v23
	v_or_b32_e32 v56, v89, v56
	v_cndmask_b32_e32 v29, v60, v29, vcc_lo
	v_cmp_gt_i32_e32 vcc_lo, 1, v34
	v_sub_nc_u32_e32 v70, 0x3f1, v59
	v_and_or_b32 v2, 0x1ff, v3, v2
	v_lshrrev_b32_e32 v25, 16, v25
	v_and_b32_e32 v58, 7, v29
	v_cndmask_b32_e32 v33, v62, v33, vcc_lo
	v_cmp_gt_i32_e32 vcc_lo, 1, v43
	v_lshrrev_b32_e32 v29, 2, v29
	v_lshrrev_b32_e32 v5, 16, v5
	v_cmp_eq_u32_e64 s0, 3, v58
	v_and_b32_e32 v60, 7, v33
	v_cndmask_b32_e32 v38, v64, v38, vcc_lo
	v_cmp_gt_i32_e32 vcc_lo, 1, v45
	v_lshrrev_b32_e32 v33, 2, v33
	v_cmp_lt_i32_e64 s1, 5, v60
	v_and_b32_e32 v61, 7, v38
	v_cndmask_b32_e32 v44, v66, v44, vcc_lo
	v_cmp_gt_i32_e32 vcc_lo, 1, v47
	v_cmp_eq_u32_e64 s2, 3, v60
	v_lshrrev_b32_e32 v38, 2, v38
	v_cmp_lt_i32_e64 s3, 5, v61
	v_and_b32_e32 v62, 7, v44
	v_cndmask_b32_e32 v46, v68, v46, vcc_lo
	v_cmp_gt_i32_e32 vcc_lo, 1, v49
	v_cmp_eq_u32_e64 s4, 3, v61
	;; [unrolled: 6-line block ×6, first 2 shown]
	v_lshrrev_b32_e32 v52, 2, v52
	v_cmp_lt_i32_e64 s13, 5, v66
	v_and_b32_e32 v67, 7, v54
	v_cndmask_b32_e32 v56, v79, v56, vcc_lo
	v_cmp_lt_i32_e32 vcc_lo, 5, v58
	v_cmp_eq_u32_e64 s14, 3, v66
	v_lshrrev_b32_e32 v54, 2, v54
	v_cmp_lt_i32_e64 s15, 5, v67
	v_cmp_eq_u32_e64 s16, 3, v67
	s_or_b32 vcc_lo, s0, vcc_lo
	v_and_b32_e32 v68, 7, v56
	v_add_co_ci_u32_e32 v29, vcc_lo, 0, v29, vcc_lo
	s_or_b32 vcc_lo, s2, s1
	v_lshrrev_b32_e32 v56, 2, v56
	v_add_co_ci_u32_e32 v33, vcc_lo, 0, v33, vcc_lo
	s_or_b32 vcc_lo, s4, s3
	v_cmp_lt_i32_e64 s17, 5, v68
	v_add_co_ci_u32_e32 v38, vcc_lo, 0, v38, vcc_lo
	s_or_b32 vcc_lo, s6, s5
	v_cmp_eq_u32_e64 s18, 3, v68
	v_add_co_ci_u32_e32 v44, vcc_lo, 0, v44, vcc_lo
	s_or_b32 vcc_lo, s8, s7
	v_add_co_ci_u32_e32 v46, vcc_lo, 0, v46, vcc_lo
	s_or_b32 vcc_lo, s10, s9
	;; [unrolled: 2-line block ×5, first 2 shown]
	v_add_co_ci_u32_e32 v54, vcc_lo, 0, v54, vcc_lo
	v_cmp_gt_i32_e32 vcc_lo, 31, v30
	v_cndmask_b32_e32 v29, 0x7c00, v29, vcc_lo
	v_cmp_gt_i32_e32 vcc_lo, 31, v34
	v_cndmask_b32_e32 v33, 0x7c00, v33, vcc_lo
	;; [unrolled: 2-line block ×9, first 2 shown]
	v_cmp_eq_u32_e32 vcc_lo, 0x40f, v30
	v_cndmask_b32_e32 v0, v29, v0, vcc_lo
	v_cmp_eq_u32_e32 vcc_lo, 0x40f, v34
	v_and_or_b32 v0, 0x8000, v31, v0
	v_cndmask_b32_e32 v29, v33, v32, vcc_lo
	v_cmp_eq_u32_e32 vcc_lo, 0x40f, v43
	v_and_b32_e32 v0, 0xffff, v0
	v_and_or_b32 v29, 0x8000, v37, v29
	v_cndmask_b32_e32 v12, v38, v12, vcc_lo
	v_cmp_eq_u32_e32 vcc_lo, 0x40f, v45
	v_lshl_or_b32 v0, v29, 16, v0
	v_and_or_b32 v12, 0x8000, v13, v12
	v_cndmask_b32_e32 v14, v44, v14, vcc_lo
	v_cmp_eq_u32_e32 vcc_lo, 0x40f, v47
	v_and_b32_e32 v12, 0xffff, v12
	v_and_or_b32 v13, 0x8000, v15, v14
	v_cndmask_b32_e32 v16, v46, v16, vcc_lo
	v_cmp_eq_u32_e32 vcc_lo, 0x40f, v49
	v_lshl_or_b32 v12, v13, 16, v12
	v_and_or_b32 v14, 0x8000, v17, v16
	v_cndmask_b32_e32 v18, v48, v18, vcc_lo
	v_cmp_eq_u32_e32 vcc_lo, 0x40f, v51
	global_store_dword v[10:11], v0, off
	global_store_dword v[35:36], v12, off
	v_or_b32_e32 v0, 0x1000, v4
	v_and_b32_e32 v14, 0xffff, v14
	v_and_or_b32 v15, 0x8000, v19, v18
	v_cndmask_b32_e32 v20, v50, v20, vcc_lo
	v_cmp_eq_u32_e32 vcc_lo, 0x40f, v53
	v_med3_i32 v10, v70, 0, 13
	v_lshrrev_b32_e32 v19, 16, v27
	v_lshl_or_b32 v14, v15, 16, v14
	v_and_or_b32 v16, 0x8000, v21, v20
	v_cndmask_b32_e32 v22, v52, v22, vcc_lo
	v_cmp_eq_u32_e32 vcc_lo, 0x40f, v55
	v_add_nc_u32_e32 v20, 0xfffffc10, v59
	v_lshrrev_b32_e32 v21, 8, v3
	v_and_b32_e32 v16, 0xffff, v16
	v_and_or_b32 v17, 0x8000, v23, v22
	v_cndmask_b32_e32 v13, v54, v24, vcc_lo
	s_or_b32 vcc_lo, s18, s17
	v_bfe_u32 v22, v3, 20, 11
	v_add_co_ci_u32_e32 v11, vcc_lo, 0, v56, vcc_lo
	v_cmp_ne_u32_e32 vcc_lo, 0, v26
	v_lshl_or_b32 v15, v17, 16, v16
	v_lshrrev_b32_e32 v17, v10, v0
	v_lshrrev_b32_e32 v16, 16, v1
	v_and_or_b32 v13, 0x8000, v25, v13
	v_cndmask_b32_e64 v12, 0, 1, vcc_lo
	v_cmp_gt_i32_e32 vcc_lo, 31, v57
	v_lshlrev_b32_e32 v10, v10, v17
	s_waitcnt vmcnt(3)
	v_mul_f16_sdwa v18, v16, v6 dst_sel:DWORD dst_unused:UNUSED_PAD src0_sel:DWORD src1_sel:WORD_1
	v_and_b32_e32 v13, 0xffff, v13
	v_lshl_or_b32 v12, v12, 9, 0x7c00
	v_cndmask_b32_e32 v11, 0x7c00, v11, vcc_lo
	v_cmp_eq_u32_e32 vcc_lo, 0x40f, v57
	v_fmac_f16_e32 v18, v1, v6
	v_mul_f16_sdwa v1, v1, v6 dst_sel:DWORD dst_unused:UNUSED_PAD src0_sel:DWORD src1_sel:WORD_1
	v_cndmask_b32_e32 v12, v11, v12, vcc_lo
	v_cmp_ne_u32_e32 vcc_lo, v10, v0
	v_cvt_f32_f16_e32 v10, v18
	global_load_dword v18, v28, s[20:21] offset:1800
	global_store_dword v[39:40], v14, off
	global_store_dword v[41:42], v15, off
	v_and_or_b32 v12, 0x8000, v19, v12
	v_cndmask_b32_e64 v0, 0, 1, vcc_lo
	v_cmp_ne_u32_e32 vcc_lo, 0, v2
	v_cvt_f64_f32_e32 v[10:11], v10
	v_sub_nc_u32_e32 v19, 0x3f1, v22
	v_fma_f16 v1, v6, v16, -v1
	v_or_b32_e32 v0, v17, v0
	v_cndmask_b32_e64 v2, 0, 1, vcc_lo
	v_lshl_or_b32 v17, v20, 12, v4
	v_cmp_gt_i32_e32 vcc_lo, 1, v20
	v_med3_i32 v19, v19, 0, 13
	v_add_nc_u32_e32 v16, 0x400, v28
	v_and_or_b32 v2, 0xffe, v21, v2
	v_lshl_or_b32 v21, v12, 16, v13
	v_cndmask_b32_e32 v0, v17, v0, vcc_lo
	v_add_co_u32 v12, vcc_lo, v41, s19
	v_or_b32_e32 v17, 0x1000, v2
	v_add_co_ci_u32_e32 v13, vcc_lo, s24, v42, vcc_lo
	v_and_b32_e32 v14, 7, v0
	v_lshrrev_b32_e32 v0, 2, v0
	v_lshrrev_b32_e32 v15, v19, v17
	global_store_dword v[12:13], v21, off
	v_mul_f64 v[10:11], v[10:11], s[22:23]
	v_cmp_lt_i32_e32 vcc_lo, 5, v14
	v_lshlrev_b32_e32 v19, v19, v15
	v_cmp_eq_u32_e64 s0, 3, v14
	v_cmp_ne_u32_e64 s1, v19, v17
	s_or_b32 vcc_lo, s0, vcc_lo
	v_add_nc_u32_e32 v17, 0xfffffc10, v22
	v_add_co_ci_u32_e32 v6, vcc_lo, 0, v0, vcc_lo
	v_cndmask_b32_e64 v14, 0, 1, s1
	v_cmp_ne_u32_e32 vcc_lo, 0, v4
	v_lshl_or_b32 v22, v17, 12, v2
	v_or_b32_e32 v19, v15, v14
	v_cvt_f32_f16_e32 v14, v1
	v_cndmask_b32_e64 v4, 0, 1, vcc_lo
	v_cmp_gt_i32_e32 vcc_lo, 1, v17
	ds_read2_b32 v[0:1], v16 offset0:59 offset1:104
	v_and_or_b32 v10, 0x1ff, v11, v10
	v_cvt_f64_f32_e32 v[14:15], v14
	v_lshl_or_b32 v4, v4, 9, 0x7c00
	v_cndmask_b32_e32 v19, v22, v19, vcc_lo
	v_cmp_gt_i32_e32 vcc_lo, 31, v20
	v_lshrrev_b32_e32 v23, 8, v11
	v_bfe_u32 v24, v11, 20, 11
	v_lshrrev_b32_e32 v11, 16, v11
	v_and_b32_e32 v22, 7, v19
	v_cndmask_b32_e32 v6, 0x7c00, v6, vcc_lo
	v_cmp_ne_u32_e32 vcc_lo, 0, v10
	v_lshrrev_b32_e32 v19, 2, v19
	v_cmp_eq_u32_e64 s0, 3, v22
	v_cndmask_b32_e64 v10, 0, 1, vcc_lo
	v_cmp_eq_u32_e32 vcc_lo, 0x40f, v20
	s_waitcnt lgkmcnt(0)
	v_lshrrev_b32_e32 v20, 16, v0
	v_cndmask_b32_e32 v4, v6, v4, vcc_lo
	v_cmp_lt_i32_e32 vcc_lo, 5, v22
	v_mul_f64 v[14:15], v[14:15], s[22:23]
	v_and_or_b32 v6, 0xffe, v23, v10
	v_sub_nc_u32_e32 v10, 0x3f1, v24
	s_waitcnt vmcnt(3)
	v_mul_f16_sdwa v23, v20, v7 dst_sel:DWORD dst_unused:UNUSED_PAD src0_sel:DWORD src1_sel:WORD_1
	s_or_b32 vcc_lo, s0, vcc_lo
	v_and_or_b32 v4, 0x8000, v5, v4
	v_add_co_ci_u32_e32 v19, vcc_lo, 0, v19, vcc_lo
	v_or_b32_e32 v22, 0x1000, v6
	v_med3_i32 v10, v10, 0, 13
	v_cmp_ne_u32_e32 vcc_lo, 0, v2
	v_fmac_f16_e32 v23, v0, v7
	v_and_b32_e32 v4, 0xffff, v4
	v_mul_f16_sdwa v0, v0, v7 dst_sel:DWORD dst_unused:UNUSED_PAD src0_sel:DWORD src1_sel:WORD_1
	v_lshrrev_b32_e32 v25, v10, v22
	v_cndmask_b32_e64 v2, 0, 1, vcc_lo
	v_cmp_gt_i32_e32 vcc_lo, 31, v17
	v_cvt_f32_f16_e32 v23, v23
	v_fma_f16 v0, v7, v20, -v0
	v_lshlrev_b32_e32 v10, v10, v25
	v_lshl_or_b32 v2, v2, 9, 0x7c00
	v_cndmask_b32_e32 v19, 0x7c00, v19, vcc_lo
	v_cmp_eq_u32_e32 vcc_lo, 0x40f, v17
	v_and_or_b32 v14, 0x1ff, v15, v14
	v_cvt_f32_f16_e32 v0, v0
	v_lshrrev_b32_e32 v20, 16, v1
	v_cndmask_b32_e32 v17, v19, v2, vcc_lo
	v_cmp_ne_u32_e32 vcc_lo, v10, v22
	v_lshrrev_b32_e32 v19, 16, v3
	v_add_nc_u32_e32 v22, 0xfffffc10, v24
	v_cvt_f64_f32_e32 v[2:3], v23
	v_bfe_u32 v23, v15, 20, 11
	v_cndmask_b32_e64 v10, 0, 1, vcc_lo
	v_cmp_ne_u32_e32 vcc_lo, 0, v14
	v_and_or_b32 v5, 0x8000, v19, v17
	v_lshl_or_b32 v17, v22, 12, v6
	v_lshrrev_b32_e32 v19, 8, v15
	v_or_b32_e32 v10, v25, v10
	v_cndmask_b32_e64 v14, 0, 1, vcc_lo
	v_cmp_gt_i32_e32 vcc_lo, 1, v22
	v_lshrrev_b32_e32 v15, 16, v15
	v_and_or_b32 v14, 0xffe, v19, v14
	v_cndmask_b32_e32 v10, v17, v10, vcc_lo
	v_sub_nc_u32_e32 v17, 0x3f1, v23
	v_lshl_or_b32 v19, v5, 16, v4
	v_add_co_u32 v4, vcc_lo, v12, s19
	v_or_b32_e32 v24, 0x1000, v14
	v_med3_i32 v17, v17, 0, 13
	v_and_b32_e32 v21, 7, v10
	v_add_co_ci_u32_e32 v5, vcc_lo, s24, v13, vcc_lo
	v_mul_f64 v[2:3], v[2:3], s[22:23]
	v_lshrrev_b32_e32 v12, v17, v24
	v_cmp_lt_i32_e32 vcc_lo, 5, v21
	v_cmp_eq_u32_e64 s0, 3, v21
	v_lshrrev_b32_e32 v10, 2, v10
	global_store_dword v[4:5], v19, off
	v_lshlrev_b32_e32 v7, v17, v12
	v_add_nc_u32_e32 v17, 0xfffffc10, v23
	s_or_b32 vcc_lo, s0, vcc_lo
	v_add_co_ci_u32_e32 v10, vcc_lo, 0, v10, vcc_lo
	v_cmp_ne_u32_e32 vcc_lo, v7, v24
	v_cndmask_b32_e64 v13, 0, 1, vcc_lo
	v_cmp_ne_u32_e32 vcc_lo, 0, v6
	v_cvt_f64_f32_e32 v[6:7], v0
	v_or_b32_e32 v0, v12, v13
	v_cndmask_b32_e64 v19, 0, 1, vcc_lo
	v_cmp_gt_i32_e32 vcc_lo, 31, v22
	v_lshl_or_b32 v12, v17, 12, v14
	v_and_or_b32 v2, 0x1ff, v3, v2
	v_lshl_or_b32 v13, v19, 9, 0x7c00
	v_cndmask_b32_e32 v10, 0x7c00, v10, vcc_lo
	v_cmp_gt_i32_e32 vcc_lo, 1, v17
	v_bfe_u32 v19, v3, 20, 11
	v_cndmask_b32_e32 v0, v12, v0, vcc_lo
	v_cmp_ne_u32_e32 vcc_lo, 0, v2
	v_lshrrev_b32_e32 v12, 8, v3
	v_lshrrev_b32_e32 v3, 16, v3
	v_cndmask_b32_e64 v2, 0, 1, vcc_lo
	v_cmp_eq_u32_e32 vcc_lo, 0x40f, v22
	v_mul_f64 v[6:7], v[6:7], s[22:23]
	s_waitcnt vmcnt(2)
	v_mul_f16_sdwa v22, v20, v9 dst_sel:DWORD dst_unused:UNUSED_PAD src0_sel:DWORD src1_sel:WORD_1
	v_and_or_b32 v2, 0xffe, v12, v2
	v_cndmask_b32_e32 v10, v10, v13, vcc_lo
	v_and_b32_e32 v13, 7, v0
	v_sub_nc_u32_e32 v12, 0x3f1, v19
	v_lshrrev_b32_e32 v0, 2, v0
	v_or_b32_e32 v21, 0x1000, v2
	v_fmac_f16_e32 v22, v1, v9
	v_cmp_lt_i32_e32 vcc_lo, 5, v13
	v_cmp_eq_u32_e64 s0, 3, v13
	v_med3_i32 v12, v12, 0, 13
	v_and_or_b32 v13, 0x8000, v11, v10
	v_cvt_f32_f16_e32 v11, v22
	v_add_nc_u32_e32 v19, 0xfffffc10, v19
	s_or_b32 vcc_lo, s0, vcc_lo
	v_lshrrev_b32_e32 v23, v12, v21
	v_add_co_ci_u32_e32 v0, vcc_lo, 0, v0, vcc_lo
	v_cmp_ne_u32_e32 vcc_lo, 0, v14
	v_and_b32_e32 v13, 0xffff, v13
	v_lshlrev_b32_e32 v12, v12, v23
	v_and_or_b32 v6, 0x1ff, v7, v6
	v_mul_f16_sdwa v1, v1, v9 dst_sel:DWORD dst_unused:UNUSED_PAD src0_sel:DWORD src1_sel:WORD_1
	v_cndmask_b32_e64 v10, 0, 1, vcc_lo
	v_cmp_gt_i32_e32 vcc_lo, 31, v17
	v_fma_f16 v9, v9, v20, -v1
	v_lshl_or_b32 v14, v10, 9, 0x7c00
	v_cndmask_b32_e32 v0, 0x7c00, v0, vcc_lo
	v_cmp_ne_u32_e32 vcc_lo, v12, v21
	v_cvt_f64_f32_e32 v[10:11], v11
	v_bfe_u32 v21, v7, 20, 11
	v_cvt_f32_f16_e32 v9, v9
	v_cndmask_b32_e64 v12, 0, 1, vcc_lo
	v_cmp_eq_u32_e32 vcc_lo, 0x40f, v17
	v_lshrrev_b32_e32 v17, 8, v7
	v_lshrrev_b32_e32 v7, 16, v7
	v_or_b32_e32 v12, v23, v12
	v_cndmask_b32_e32 v0, v0, v14, vcc_lo
	v_cmp_ne_u32_e32 vcc_lo, 0, v6
	v_lshl_or_b32 v14, v19, 12, v2
	v_and_or_b32 v0, 0x8000, v15, v0
	v_cndmask_b32_e64 v6, 0, 1, vcc_lo
	v_cmp_gt_i32_e32 vcc_lo, 1, v19
	v_lshl_or_b32 v22, v0, 16, v13
	v_and_or_b32 v6, 0xffe, v17, v6
	v_cndmask_b32_e32 v12, v14, v12, vcc_lo
	v_sub_nc_u32_e32 v14, 0x3f1, v21
	v_mul_f64 v[10:11], v[10:11], s[22:23]
	v_add_co_u32 v0, s1, v4, s19
	v_and_b32_e32 v15, 7, v12
	v_or_b32_e32 v17, 0x1000, v6
	v_med3_i32 v14, v14, 0, 13
	v_lshrrev_b32_e32 v4, 2, v12
	v_add_co_ci_u32_e64 v1, s1, s24, v5, s1
	v_cmp_lt_i32_e32 vcc_lo, 5, v15
	v_cmp_eq_u32_e64 s0, 3, v15
	v_lshrrev_b32_e32 v15, v14, v17
	s_or_b32 vcc_lo, s0, vcc_lo
	v_lshlrev_b32_e32 v12, v14, v15
	v_add_co_ci_u32_e32 v14, vcc_lo, 0, v4, vcc_lo
	ds_read2_b32 v[4:5], v16 offset0:149 offset1:194
	v_cmp_ne_u32_e32 vcc_lo, v12, v17
	v_cvt_f64_f32_e32 v[12:13], v9
	v_and_or_b32 v9, 0x1ff, v11, v10
	v_add_nc_u32_e32 v17, 0xfffffc10, v21
	v_bfe_u32 v20, v11, 20, 11
	v_cndmask_b32_e64 v16, 0, 1, vcc_lo
	v_cmp_gt_i32_e32 vcc_lo, 31, v19
	v_or_b32_e32 v10, v15, v16
	v_cndmask_b32_e32 v14, 0x7c00, v14, vcc_lo
	v_cmp_ne_u32_e32 vcc_lo, 0, v9
	v_lshrrev_b32_e32 v16, 8, v11
	v_lshl_or_b32 v15, v17, 12, v6
	v_lshrrev_b32_e32 v11, 16, v11
	v_cndmask_b32_e64 v9, 0, 1, vcc_lo
	v_cmp_ne_u32_e32 vcc_lo, 0, v2
	s_waitcnt lgkmcnt(0)
	v_lshrrev_b32_e32 v21, 16, v4
	v_and_or_b32 v16, 0xffe, v16, v9
	v_cndmask_b32_e64 v2, 0, 1, vcc_lo
	v_cmp_gt_i32_e32 vcc_lo, 1, v17
	v_sub_nc_u32_e32 v9, 0x3f1, v20
	v_add_nc_u32_e32 v20, 0xfffffc10, v20
	v_or_b32_e32 v24, 0x1000, v16
	v_lshl_or_b32 v2, v2, 9, 0x7c00
	v_cndmask_b32_e32 v15, v15, v10, vcc_lo
	v_cmp_eq_u32_e32 vcc_lo, 0x40f, v19
	v_med3_i32 v25, v9, 0, 13
	v_mul_f64 v[9:10], v[12:13], s[22:23]
	s_waitcnt vmcnt(1)
	v_mul_f16_sdwa v12, v21, v8 dst_sel:DWORD dst_unused:UNUSED_PAD src0_sel:DWORD src1_sel:WORD_1
	v_and_b32_e32 v23, 7, v15
	v_cndmask_b32_e32 v2, v14, v2, vcc_lo
	v_lshrrev_b32_e32 v13, v25, v24
	v_fmac_f16_e32 v12, v4, v8
	v_cmp_lt_i32_e32 vcc_lo, 5, v23
	v_cmp_eq_u32_e64 s0, 3, v23
	v_and_or_b32 v14, 0x8000, v3, v2
	v_lshrrev_b32_e32 v2, 2, v15
	v_lshlrev_b32_e32 v3, v25, v13
	v_cvt_f32_f16_e32 v12, v12
	s_or_b32 vcc_lo, s0, vcc_lo
	v_mul_f16_sdwa v4, v4, v8 dst_sel:DWORD dst_unused:UNUSED_PAD src0_sel:DWORD src1_sel:WORD_1
	v_add_co_ci_u32_e32 v15, vcc_lo, 0, v2, vcc_lo
	v_cmp_ne_u32_e32 vcc_lo, v3, v24
	v_cvt_f64_f32_e32 v[2:3], v12
	v_fma_f16 v4, v8, v21, -v4
	v_cndmask_b32_e64 v19, 0, 1, vcc_lo
	v_cmp_ne_u32_e32 vcc_lo, 0, v6
	v_and_or_b32 v9, 0x1ff, v10, v9
	v_cvt_f32_f16_e32 v4, v4
	v_or_b32_e32 v12, v13, v19
	v_cndmask_b32_e64 v6, 0, 1, vcc_lo
	v_cmp_gt_i32_e32 vcc_lo, 31, v17
	v_lshl_or_b32 v13, v20, 12, v16
	v_bfe_u32 v19, v10, 20, 11
	v_lshl_or_b32 v6, v6, 9, 0x7c00
	v_cndmask_b32_e32 v15, 0x7c00, v15, vcc_lo
	v_cmp_gt_i32_e32 vcc_lo, 1, v20
	v_cndmask_b32_e32 v12, v13, v12, vcc_lo
	v_cmp_ne_u32_e32 vcc_lo, 0, v9
	v_lshrrev_b32_e32 v13, 8, v10
	v_mul_f64 v[2:3], v[2:3], s[22:23]
	v_and_b32_e32 v23, 7, v12
	v_cndmask_b32_e64 v9, 0, 1, vcc_lo
	v_cmp_eq_u32_e32 vcc_lo, 0x40f, v17
	v_cmp_eq_u32_e64 s0, 3, v23
	v_and_or_b32 v13, 0xffe, v13, v9
	v_cndmask_b32_e32 v6, v15, v6, vcc_lo
	v_sub_nc_u32_e32 v9, 0x3f1, v19
	v_cmp_lt_i32_e32 vcc_lo, 5, v23
	v_or_b32_e32 v15, 0x1000, v13
	v_and_or_b32 v6, 0x8000, v7, v6
	v_lshrrev_b32_e32 v7, 2, v12
	v_med3_i32 v9, v9, 0, 13
	s_or_b32 vcc_lo, s0, vcc_lo
	v_and_b32_e32 v12, 0xffff, v14
	v_add_co_ci_u32_e32 v7, vcc_lo, 0, v7, vcc_lo
	v_lshrrev_b32_e32 v14, v9, v15
	v_cmp_ne_u32_e32 vcc_lo, 0, v16
	v_lshl_or_b32 v17, v6, 16, v12
	v_and_or_b32 v2, 0x1ff, v3, v2
	v_lshlrev_b32_e32 v6, v9, v14
	v_cndmask_b32_e64 v16, 0, 1, vcc_lo
	v_cmp_gt_i32_e32 vcc_lo, 31, v20
	v_lshl_or_b32 v9, v16, 9, 0x7c00
	v_cndmask_b32_e32 v7, 0x7c00, v7, vcc_lo
	v_cmp_ne_u32_e32 vcc_lo, v6, v15
	v_add_nc_u32_e32 v15, 0xfffffc10, v19
	v_bfe_u32 v16, v3, 20, 11
	v_cndmask_b32_e64 v6, 0, 1, vcc_lo
	v_cmp_eq_u32_e32 vcc_lo, 0x40f, v20
	v_or_b32_e32 v8, v14, v6
	v_cndmask_b32_e32 v12, v7, v9, vcc_lo
	v_cmp_ne_u32_e32 vcc_lo, 0, v2
	v_lshl_or_b32 v9, v15, 12, v13
	v_lshrrev_b32_e32 v14, 8, v3
	v_cvt_f64_f32_e32 v[6:7], v4
	v_and_or_b32 v24, 0x8000, v11, v12
	v_cndmask_b32_e64 v2, 0, 1, vcc_lo
	v_cmp_gt_i32_e32 vcc_lo, 1, v15
	v_lshrrev_b32_e32 v3, 16, v3
	v_and_or_b32 v2, 0xffe, v14, v2
	v_cndmask_b32_e32 v4, v9, v8, vcc_lo
	v_sub_nc_u32_e32 v8, 0x3f1, v16
	v_lshrrev_b32_e32 v14, 16, v5
	v_add_nc_u32_e32 v16, 0xfffffc10, v16
	v_or_b32_e32 v20, 0x1000, v2
	v_and_b32_e32 v19, 7, v4
	v_med3_i32 v21, v8, 0, 13
	s_waitcnt vmcnt(0)
	v_mul_f16_sdwa v23, v14, v18 dst_sel:DWORD dst_unused:UNUSED_PAD src0_sel:DWORD src1_sel:WORD_1
	v_add_co_u32 v8, vcc_lo, v0, s19
	v_add_co_ci_u32_e32 v9, vcc_lo, s24, v1, vcc_lo
	v_lshrrev_b32_e32 v25, v21, v20
	v_fmac_f16_e32 v23, v5, v18
	v_cmp_lt_i32_e32 vcc_lo, 5, v19
	v_cmp_eq_u32_e64 s0, 3, v19
	v_lshrrev_b32_e32 v4, 2, v4
	v_lshlrev_b32_e32 v19, v21, v25
	v_cvt_f32_f16_e32 v11, v23
	v_mul_f64 v[6:7], v[6:7], s[22:23]
	s_or_b32 vcc_lo, s0, vcc_lo
	v_mul_f16_sdwa v5, v5, v18 dst_sel:DWORD dst_unused:UNUSED_PAD src0_sel:DWORD src1_sel:WORD_1
	v_add_co_ci_u32_e32 v4, vcc_lo, 0, v4, vcc_lo
	v_cmp_ne_u32_e32 vcc_lo, v19, v20
	v_cvt_f64_f32_e32 v[11:12], v11
	v_lshl_or_b32 v20, v16, 12, v2
	v_fma_f16 v5, v18, v14, -v5
	v_cndmask_b32_e64 v19, 0, 1, vcc_lo
	v_cmp_ne_u32_e32 vcc_lo, 0, v13
	v_cvt_f32_f16_e32 v5, v5
	v_or_b32_e32 v19, v25, v19
	v_cndmask_b32_e64 v13, 0, 1, vcc_lo
	v_cmp_gt_i32_e32 vcc_lo, 31, v15
	v_lshl_or_b32 v13, v13, 9, 0x7c00
	v_cndmask_b32_e32 v4, 0x7c00, v4, vcc_lo
	v_cmp_gt_i32_e32 vcc_lo, 1, v16
	v_and_or_b32 v6, 0x1ff, v7, v6
	v_cndmask_b32_e32 v14, v20, v19, vcc_lo
	v_cmp_eq_u32_e32 vcc_lo, 0x40f, v15
	v_lshrrev_b32_e32 v15, 16, v10
	v_mul_f64 v[10:11], v[11:12], s[22:23]
	v_lshrrev_b32_e32 v12, 8, v7
	v_and_b32_e32 v18, 7, v14
	v_cndmask_b32_e32 v13, v4, v13, vcc_lo
	v_cvt_f64_f32_e32 v[4:5], v5
	v_cmp_ne_u32_e32 vcc_lo, 0, v6
	v_bfe_u32 v19, v7, 20, 11
	v_cmp_eq_u32_e64 s0, 3, v18
	v_lshrrev_b32_e32 v14, 2, v14
	v_and_or_b32 v13, 0x8000, v15, v13
	v_cndmask_b32_e64 v6, 0, 1, vcc_lo
	v_cmp_lt_i32_e32 vcc_lo, 5, v18
	v_and_b32_e32 v15, 0xffff, v24
	v_lshrrev_b32_e32 v7, 16, v7
	v_and_or_b32 v6, 0xffe, v12, v6
	v_sub_nc_u32_e32 v12, 0x3f1, v19
	s_or_b32 vcc_lo, s0, vcc_lo
	v_lshl_or_b32 v13, v13, 16, v15
	v_add_co_ci_u32_e32 v14, vcc_lo, 0, v14, vcc_lo
	v_or_b32_e32 v15, 0x1000, v6
	v_med3_i32 v12, v12, 0, 13
	v_cmp_ne_u32_e32 vcc_lo, 0, v2
	v_and_or_b32 v10, 0x1ff, v11, v10
	v_lshrrev_b32_e32 v20, 8, v11
	v_mul_f64 v[4:5], v[4:5], s[22:23]
	v_lshrrev_b32_e32 v18, v12, v15
	v_cndmask_b32_e64 v2, 0, 1, vcc_lo
	v_cmp_gt_i32_e32 vcc_lo, 31, v16
	v_bfe_u32 v21, v11, 20, 11
	v_lshrrev_b32_e32 v11, 16, v11
	v_lshlrev_b32_e32 v12, v12, v18
	v_lshl_or_b32 v2, v2, 9, 0x7c00
	v_cndmask_b32_e32 v14, 0x7c00, v14, vcc_lo
	v_cmp_ne_u32_e32 vcc_lo, 0, v10
	v_cndmask_b32_e64 v10, 0, 1, vcc_lo
	v_cmp_ne_u32_e32 vcc_lo, v12, v15
	v_add_nc_u32_e32 v15, 0xfffffc10, v19
	v_sub_nc_u32_e32 v19, 0x3f1, v21
	v_and_or_b32 v10, 0xffe, v20, v10
	v_cndmask_b32_e64 v12, 0, 1, vcc_lo
	v_cmp_eq_u32_e32 vcc_lo, 0x40f, v16
	v_and_or_b32 v4, 0x1ff, v5, v4
	v_bfe_u32 v20, v5, 20, 11
	v_or_b32_e32 v16, 0x1000, v10
	v_or_b32_e32 v12, v18, v12
	v_cndmask_b32_e32 v2, v14, v2, vcc_lo
	v_lshl_or_b32 v14, v15, 12, v6
	v_med3_i32 v18, v19, 0, 13
	v_cmp_gt_i32_e32 vcc_lo, 1, v15
	v_lshrrev_b32_e32 v19, 8, v5
	v_and_or_b32 v2, 0x8000, v3, v2
	v_lshrrev_b32_e32 v5, 16, v5
	v_cndmask_b32_e32 v12, v14, v12, vcc_lo
	v_lshrrev_b32_e32 v14, v18, v16
	v_cmp_ne_u32_e32 vcc_lo, 0, v4
	v_and_b32_e32 v23, 7, v12
	v_lshlrev_b32_e32 v18, v18, v14
	v_cndmask_b32_e64 v4, 0, 1, vcc_lo
	v_lshrrev_b32_e32 v12, 2, v12
	v_cmp_lt_i32_e32 vcc_lo, 5, v23
	v_cmp_ne_u32_e64 s0, v18, v16
	v_and_or_b32 v3, 0xffe, v19, v4
	v_sub_nc_u32_e32 v4, 0x3f1, v20
	v_add_nc_u32_e32 v19, 0xfffffc10, v21
	v_cndmask_b32_e64 v16, 0, 1, s0
	v_cmp_eq_u32_e64 s0, 3, v23
	v_or_b32_e32 v18, 0x1000, v3
	v_med3_i32 v4, v4, 0, 13
	v_lshl_or_b32 v21, v19, 12, v10
	v_or_b32_e32 v14, v14, v16
	s_or_b32 vcc_lo, s0, vcc_lo
	v_add_co_ci_u32_e32 v12, vcc_lo, 0, v12, vcc_lo
	v_lshrrev_b32_e32 v16, v4, v18
	v_cmp_gt_i32_e32 vcc_lo, 1, v19
	v_lshlrev_b32_e32 v4, v4, v16
	v_cndmask_b32_e32 v14, v21, v14, vcc_lo
	v_cmp_ne_u32_e32 vcc_lo, 0, v6
	v_cndmask_b32_e64 v6, 0, 1, vcc_lo
	v_cmp_ne_u32_e32 vcc_lo, v4, v18
	v_add_nc_u32_e32 v18, 0xfffffc10, v20
	v_and_b32_e32 v20, 7, v14
	v_lshl_or_b32 v6, v6, 9, 0x7c00
	v_cndmask_b32_e64 v4, 0, 1, vcc_lo
	v_cmp_gt_i32_e32 vcc_lo, 31, v15
	v_cmp_gt_i32_e64 s1, 1, v18
	v_cmp_eq_u32_e64 s0, 3, v20
	v_or_b32_e32 v4, v16, v4
	v_lshl_or_b32 v16, v18, 12, v3
	v_cndmask_b32_e32 v12, 0x7c00, v12, vcc_lo
	v_cmp_lt_i32_e32 vcc_lo, 5, v20
	v_cndmask_b32_e64 v4, v16, v4, s1
	v_cmp_eq_u32_e64 s1, 0x40f, v15
	s_or_b32 vcc_lo, s0, vcc_lo
	v_cndmask_b32_e64 v6, v12, v6, s1
	v_lshrrev_b32_e32 v12, 2, v14
	v_and_b32_e32 v14, 7, v4
	v_lshrrev_b32_e32 v4, 2, v4
	v_cmp_gt_i32_e64 s1, 31, v19
	v_and_or_b32 v6, 0x8000, v7, v6
	v_add_co_ci_u32_e32 v12, vcc_lo, 0, v12, vcc_lo
	v_cmp_ne_u32_e32 vcc_lo, 0, v10
	v_cmp_eq_u32_e64 s0, 3, v14
	v_and_b32_e32 v7, 0xffff, v2
	v_cndmask_b32_e64 v12, 0x7c00, v12, s1
	v_cndmask_b32_e64 v10, 0, 1, vcc_lo
	v_cmp_lt_i32_e32 vcc_lo, 5, v14
	v_lshl_or_b32 v10, v10, 9, 0x7c00
	s_or_b32 vcc_lo, s0, vcc_lo
	v_add_co_ci_u32_e32 v4, vcc_lo, 0, v4, vcc_lo
	v_cmp_ne_u32_e32 vcc_lo, 0, v3
	v_cndmask_b32_e64 v3, 0, 1, vcc_lo
	v_cmp_eq_u32_e32 vcc_lo, 0x40f, v19
	v_lshl_or_b32 v3, v3, 9, 0x7c00
	v_cndmask_b32_e32 v10, v12, v10, vcc_lo
	v_cmp_gt_i32_e32 vcc_lo, 31, v18
	v_and_or_b32 v10, 0x8000, v11, v10
	v_cndmask_b32_e32 v4, 0x7c00, v4, vcc_lo
	v_cmp_eq_u32_e32 vcc_lo, 0x40f, v18
	v_lshl_or_b32 v11, v6, 16, v7
	v_and_b32_e32 v7, 0xffff, v10
	v_cndmask_b32_e32 v4, v4, v3, vcc_lo
	v_add_co_u32 v2, vcc_lo, v8, s19
	v_add_co_ci_u32_e32 v3, vcc_lo, s24, v9, vcc_lo
	v_and_or_b32 v6, 0x8000, v5, v4
	v_add_co_u32 v4, vcc_lo, v2, s19
	v_add_co_ci_u32_e32 v5, vcc_lo, s24, v3, vcc_lo
	v_lshl_or_b32 v10, v6, 16, v7
	v_add_co_u32 v6, vcc_lo, v4, s19
	v_add_co_ci_u32_e32 v7, vcc_lo, s24, v5, vcc_lo
	global_store_dword v[0:1], v22, off
	global_store_dword v[8:9], v17, off
	;; [unrolled: 1-line block ×5, first 2 shown]
.LBB0_23:
	s_endpgm
	.section	.rodata,"a",@progbits
	.p2align	6, 0x0
	.amdhsa_kernel bluestein_single_back_len495_dim1_half_op_CI_CI
		.amdhsa_group_segment_fixed_size 1980
		.amdhsa_private_segment_fixed_size 0
		.amdhsa_kernarg_size 104
		.amdhsa_user_sgpr_count 6
		.amdhsa_user_sgpr_private_segment_buffer 1
		.amdhsa_user_sgpr_dispatch_ptr 0
		.amdhsa_user_sgpr_queue_ptr 0
		.amdhsa_user_sgpr_kernarg_segment_ptr 1
		.amdhsa_user_sgpr_dispatch_id 0
		.amdhsa_user_sgpr_flat_scratch_init 0
		.amdhsa_user_sgpr_private_segment_size 0
		.amdhsa_wavefront_size32 1
		.amdhsa_uses_dynamic_stack 0
		.amdhsa_system_sgpr_private_segment_wavefront_offset 0
		.amdhsa_system_sgpr_workgroup_id_x 1
		.amdhsa_system_sgpr_workgroup_id_y 0
		.amdhsa_system_sgpr_workgroup_id_z 0
		.amdhsa_system_sgpr_workgroup_info 0
		.amdhsa_system_vgpr_workitem_id 0
		.amdhsa_next_free_vgpr 114
		.amdhsa_next_free_sgpr 25
		.amdhsa_reserve_vcc 1
		.amdhsa_reserve_flat_scratch 0
		.amdhsa_float_round_mode_32 0
		.amdhsa_float_round_mode_16_64 0
		.amdhsa_float_denorm_mode_32 3
		.amdhsa_float_denorm_mode_16_64 3
		.amdhsa_dx10_clamp 1
		.amdhsa_ieee_mode 1
		.amdhsa_fp16_overflow 0
		.amdhsa_workgroup_processor_mode 1
		.amdhsa_memory_ordered 1
		.amdhsa_forward_progress 0
		.amdhsa_shared_vgpr_count 0
		.amdhsa_exception_fp_ieee_invalid_op 0
		.amdhsa_exception_fp_denorm_src 0
		.amdhsa_exception_fp_ieee_div_zero 0
		.amdhsa_exception_fp_ieee_overflow 0
		.amdhsa_exception_fp_ieee_underflow 0
		.amdhsa_exception_fp_ieee_inexact 0
		.amdhsa_exception_int_div_zero 0
	.end_amdhsa_kernel
	.text
.Lfunc_end0:
	.size	bluestein_single_back_len495_dim1_half_op_CI_CI, .Lfunc_end0-bluestein_single_back_len495_dim1_half_op_CI_CI
                                        ; -- End function
	.section	.AMDGPU.csdata,"",@progbits
; Kernel info:
; codeLenInByte = 17540
; NumSgprs: 27
; NumVgprs: 114
; ScratchSize: 0
; MemoryBound: 0
; FloatMode: 240
; IeeeMode: 1
; LDSByteSize: 1980 bytes/workgroup (compile time only)
; SGPRBlocks: 3
; VGPRBlocks: 14
; NumSGPRsForWavesPerEU: 27
; NumVGPRsForWavesPerEU: 114
; Occupancy: 8
; WaveLimiterHint : 1
; COMPUTE_PGM_RSRC2:SCRATCH_EN: 0
; COMPUTE_PGM_RSRC2:USER_SGPR: 6
; COMPUTE_PGM_RSRC2:TRAP_HANDLER: 0
; COMPUTE_PGM_RSRC2:TGID_X_EN: 1
; COMPUTE_PGM_RSRC2:TGID_Y_EN: 0
; COMPUTE_PGM_RSRC2:TGID_Z_EN: 0
; COMPUTE_PGM_RSRC2:TIDIG_COMP_CNT: 0
	.text
	.p2alignl 6, 3214868480
	.fill 48, 4, 3214868480
	.type	__hip_cuid_96ab7c3dbe6688b7,@object ; @__hip_cuid_96ab7c3dbe6688b7
	.section	.bss,"aw",@nobits
	.globl	__hip_cuid_96ab7c3dbe6688b7
__hip_cuid_96ab7c3dbe6688b7:
	.byte	0                               ; 0x0
	.size	__hip_cuid_96ab7c3dbe6688b7, 1

	.ident	"AMD clang version 19.0.0git (https://github.com/RadeonOpenCompute/llvm-project roc-6.4.0 25133 c7fe45cf4b819c5991fe208aaa96edf142730f1d)"
	.section	".note.GNU-stack","",@progbits
	.addrsig
	.addrsig_sym __hip_cuid_96ab7c3dbe6688b7
	.amdgpu_metadata
---
amdhsa.kernels:
  - .args:
      - .actual_access:  read_only
        .address_space:  global
        .offset:         0
        .size:           8
        .value_kind:     global_buffer
      - .actual_access:  read_only
        .address_space:  global
        .offset:         8
        .size:           8
        .value_kind:     global_buffer
      - .actual_access:  read_only
        .address_space:  global
        .offset:         16
        .size:           8
        .value_kind:     global_buffer
      - .actual_access:  read_only
        .address_space:  global
        .offset:         24
        .size:           8
        .value_kind:     global_buffer
      - .actual_access:  read_only
        .address_space:  global
        .offset:         32
        .size:           8
        .value_kind:     global_buffer
      - .offset:         40
        .size:           8
        .value_kind:     by_value
      - .address_space:  global
        .offset:         48
        .size:           8
        .value_kind:     global_buffer
      - .address_space:  global
        .offset:         56
        .size:           8
        .value_kind:     global_buffer
      - .address_space:  global
        .offset:         64
        .size:           8
        .value_kind:     global_buffer
      - .address_space:  global
        .offset:         72
        .size:           8
        .value_kind:     global_buffer
      - .offset:         80
        .size:           4
        .value_kind:     by_value
      - .address_space:  global
        .offset:         88
        .size:           8
        .value_kind:     global_buffer
      - .address_space:  global
        .offset:         96
        .size:           8
        .value_kind:     global_buffer
    .group_segment_fixed_size: 1980
    .kernarg_segment_align: 8
    .kernarg_segment_size: 104
    .language:       OpenCL C
    .language_version:
      - 2
      - 0
    .max_flat_workgroup_size: 55
    .name:           bluestein_single_back_len495_dim1_half_op_CI_CI
    .private_segment_fixed_size: 0
    .sgpr_count:     27
    .sgpr_spill_count: 0
    .symbol:         bluestein_single_back_len495_dim1_half_op_CI_CI.kd
    .uniform_work_group_size: 1
    .uses_dynamic_stack: false
    .vgpr_count:     114
    .vgpr_spill_count: 0
    .wavefront_size: 32
    .workgroup_processor_mode: 1
amdhsa.target:   amdgcn-amd-amdhsa--gfx1030
amdhsa.version:
  - 1
  - 2
...

	.end_amdgpu_metadata
